;; amdgpu-corpus repo=ROCm/rocFFT kind=compiled arch=gfx950 opt=O3
	.text
	.amdgcn_target "amdgcn-amd-amdhsa--gfx950"
	.amdhsa_code_object_version 6
	.protected	bluestein_single_fwd_len1008_dim1_dp_op_CI_CI ; -- Begin function bluestein_single_fwd_len1008_dim1_dp_op_CI_CI
	.globl	bluestein_single_fwd_len1008_dim1_dp_op_CI_CI
	.p2align	8
	.type	bluestein_single_fwd_len1008_dim1_dp_op_CI_CI,@function
bluestein_single_fwd_len1008_dim1_dp_op_CI_CI: ; @bluestein_single_fwd_len1008_dim1_dp_op_CI_CI
; %bb.0:
	s_load_dwordx4 s[12:15], s[0:1], 0x28
	v_mul_u32_u24_e32 v1, 0x493, v0
	v_add_u32_sdwa v154, s2, v1 dst_sel:DWORD dst_unused:UNUSED_PAD src0_sel:DWORD src1_sel:WORD_1
	v_mov_b32_e32 v155, 0
	s_waitcnt lgkmcnt(0)
	v_cmp_gt_u64_e32 vcc, s[12:13], v[154:155]
	s_and_saveexec_b64 s[2:3], vcc
	s_cbranch_execz .LBB0_10
; %bb.1:
	s_load_dwordx4 s[4:7], s[0:1], 0x18
	s_load_dwordx4 s[8:11], s[0:1], 0x0
	v_mov_b32_e32 v2, s14
	v_mov_b32_e32 v3, s15
	;; [unrolled: 1-line block ×3, first 2 shown]
	s_waitcnt lgkmcnt(0)
	s_load_dwordx4 s[12:15], s[4:5], 0x0
	v_mul_lo_u16_sdwa v1, v1, v4 dst_sel:DWORD dst_unused:UNUSED_PAD src0_sel:WORD_1 src1_sel:DWORD
	v_sub_u16_e32 v6, v0, v1
	v_mov_b32_e32 v60, 0xffffe400
	v_or_b32_e32 v108, 0x1c0, v6
	s_waitcnt lgkmcnt(0)
	v_mad_u64_u32 v[0:1], s[2:3], s14, v154, 0
	v_mov_b32_e32 v4, v1
	v_mad_u64_u32 v[4:5], s[2:3], s15, v154, v[4:5]
	v_mov_b32_e32 v1, v4
	v_mad_u64_u32 v[4:5], s[2:3], s12, v6, 0
	v_mov_b32_e32 v8, v5
	v_mad_u64_u32 v[8:9], s[2:3], s13, v6, v[8:9]
	v_mov_b32_e32 v5, v8
	v_lshl_add_u64 v[8:9], v[0:1], 4, v[2:3]
	v_lshl_add_u64 v[12:13], v[4:5], 4, v[8:9]
	v_lshlrev_b32_e32 v4, 4, v6
	v_mov_b32_e32 v5, v155
	v_lshl_add_u64 v[10:11], s[8:9], 0, v[4:5]
	v_mov_b32_e32 v5, 0x1f80
	v_mad_u64_u32 v[14:15], s[2:3], s12, v5, v[12:13]
	s_mul_i32 s2, s13, 0x1f80
	s_nop 0
	v_add_u32_e32 v15, s2, v15
	s_movk_i32 s3, 0x1000
	global_load_dwordx4 v[0:3], v[12:13], off
	global_load_dwordx4 v[36:39], v[14:15], off
	v_add_co_u32_e32 v12, vcc, s3, v10
	global_load_dwordx4 v[66:69], v4, s[8:9]
	s_nop 0
	v_addc_co_u32_e32 v13, vcc, 0, v11, vcc
	global_load_dwordx4 v[56:59], v[12:13], off offset:3968
	s_mul_i32 s3, s13, 0xffffe400
	v_mad_u64_u32 v[14:15], s[4:5], s12, v60, v[14:15]
	s_sub_i32 s3, s3, s12
	v_add_u32_e32 v15, s3, v15
	global_load_dwordx4 v[62:65], v4, s[8:9] offset:896
	global_load_dwordx4 v[40:43], v[14:15], off
	s_movk_i32 s14, 0x2000
	v_add_co_u32_e32 v52, vcc, s14, v10
	v_mad_u64_u32 v[22:23], s[14:15], s12, v5, v[14:15]
	v_add_u32_e32 v23, s2, v23
	v_mad_u64_u32 v[24:25], s[14:15], s12, v60, v[22:23]
	v_add_u32_e32 v25, s3, v25
	;; [unrolled: 2-line block ×4, first 2 shown]
	v_mad_u64_u32 v[34:35], s[14:15], s12, v5, v[30:31]
	s_mov_b32 s4, 0
	v_addc_co_u32_e32 v53, vcc, 0, v11, vcc
	v_add_u32_e32 v35, s2, v35
	v_mov_b32_e32 v7, s4
	s_load_dwordx4 s[4:7], s[6:7], 0x0
	global_load_dwordx4 v[76:79], v4, s[8:9] offset:1792
	global_load_dwordx4 v[80:83], v4, s[8:9] offset:2688
	;; [unrolled: 1-line block ×3, first 2 shown]
	global_load_dwordx4 v[92:95], v[52:53], off offset:768
	global_load_dwordx4 v[88:91], v[52:53], off offset:1664
	;; [unrolled: 1-line block ×3, first 2 shown]
	global_load_dwordx4 v[14:17], v[22:23], off
	global_load_dwordx4 v[18:21], v[24:25], off
	v_lshl_add_u64 v[128:129], v[6:7], 0, 56
	global_load_dwordx4 v[22:25], v[26:27], off
	v_accvgpr_write_b32 a37, v108
	global_load_dwordx4 v[26:29], v[30:31], off
	v_accvgpr_write_b32 a38, v154
	global_load_dwordx4 v[30:33], v[34:35], off
	v_mad_u64_u32 v[34:35], s[14:15], s12, v60, v[34:35]
	v_add_u32_e32 v35, s3, v35
	global_load_dwordx4 v[44:47], v[34:35], off
	v_mad_u64_u32 v[54:55], s[14:15], s12, v5, v[34:35]
	v_add_u32_e32 v55, s2, v55
                                        ; implicit-def: $vgpr244_vgpr245
                                        ; implicit-def: $vgpr248_vgpr249
	s_waitcnt vmcnt(15)
	v_mul_f64 v[48:49], v[2:3], v[68:69]
	v_mul_f64 v[34:35], v[0:1], v[68:69]
	v_fmac_f64_e32 v[48:49], v[0:1], v[66:67]
	v_fma_f64 v[50:51], v[2:3], v[66:67], -v[34:35]
	s_waitcnt vmcnt(14)
	v_mul_f64 v[0:1], v[38:39], v[58:59]
	v_mul_f64 v[2:3], v[36:37], v[58:59]
	v_fmac_f64_e32 v[0:1], v[36:37], v[56:57]
	v_fma_f64 v[2:3], v[38:39], v[56:57], -v[2:3]
	ds_write_b128 v4, v[0:3] offset:8064
	s_waitcnt vmcnt(12)
	v_mul_f64 v[2:3], v[40:41], v[64:65]
	v_mul_f64 v[0:1], v[42:43], v[64:65]
	v_fma_f64 v[2:3], v[42:43], v[62:63], -v[2:3]
	v_mad_u64_u32 v[42:43], s[14:15], s12, v60, v[54:55]
	ds_write_b128 v4, v[48:51]
	v_add_u32_e32 v43, s3, v43
	v_fmac_f64_e32 v[0:1], v[40:41], v[62:63]
	global_load_dwordx4 v[34:37], v[54:55], off
	global_load_dwordx4 v[142:145], v[52:53], off offset:2560
	global_load_dwordx4 v[114:117], v[52:53], off offset:3456
	global_load_dwordx4 v[38:41], v[42:43], off
	v_mad_u64_u32 v[42:43], s[14:15], s12, v5, v[42:43]
	v_add_u32_e32 v43, s2, v43
	s_movk_i32 s14, 0x3000
	global_load_dwordx4 v[48:51], v[42:43], off
	v_add_co_u32_e32 v10, vcc, s14, v10
	v_mad_u64_u32 v[42:43], s[14:15], s12, v60, v[42:43]
	v_add_u32_e32 v43, s3, v43
	global_load_dwordx4 v[52:55], v[42:43], off
	global_load_dwordx4 v[130:133], v[12:13], off offset:384
	global_load_dwordx4 v[110:113], v[12:13], off offset:1280
	v_mad_u64_u32 v[12:13], s[14:15], s12, v5, v[42:43]
	v_accvgpr_write_b32 a0, v56
	v_add_u32_e32 v13, s2, v13
	v_accvgpr_write_b32 a1, v57
	v_accvgpr_write_b32 a2, v58
	;; [unrolled: 1-line block ×3, first 2 shown]
	v_addc_co_u32_e32 v11, vcc, 0, v11, vcc
	global_load_dwordx4 v[56:59], v[12:13], off
	global_load_dwordx4 v[118:121], v[10:11], off offset:256
	global_load_dwordx4 v[104:107], v[10:11], off offset:1152
	v_mad_u64_u32 v[12:13], s[14:15], s12, v60, v[12:13]
	v_or_b32_e32 v5, 0x380, v6
	v_accvgpr_write_b32 a4, v62
	v_add_u32_e32 v13, s3, v13
	v_mad_u64_u32 v[42:43], s[2:3], s12, v5, 0
	v_accvgpr_write_b32 a5, v63
	v_accvgpr_write_b32 a6, v64
	;; [unrolled: 1-line block ×3, first 2 shown]
	v_mov_b32_e32 v64, v43
	v_mad_u64_u32 v[64:65], s[2:3], s13, v5, v[64:65]
	v_mov_b32_e32 v43, v64
	v_accvgpr_write_b32 a32, v66
	v_lshl_add_u64 v[42:43], v[42:43], 4, v[8:9]
	v_accvgpr_write_b32 a33, v67
	v_accvgpr_write_b32 a34, v68
	;; [unrolled: 1-line block ×3, first 2 shown]
	global_load_dwordx4 v[64:67], v[42:43], off
	v_mad_u64_u32 v[42:43], s[2:3], s12, v108, 0
	v_mov_b32_e32 v68, v43
	global_load_dwordx4 v[60:63], v[12:13], off
	v_accvgpr_write_b32 a36, v5
	v_lshlrev_b32_e32 v5, 4, v5
	v_mad_u64_u32 v[68:69], s[2:3], s13, v108, v[68:69]
	v_accvgpr_write_b32 a111, v5
	global_load_dwordx4 v[100:103], v5, s[8:9]
	v_mov_b32_e32 v43, v68
	v_lshlrev_b32_e32 v5, 4, v108
	v_lshl_add_u64 v[8:9], v[42:43], 4, v[8:9]
	v_accvgpr_write_b32 a114, v5
	global_load_dwordx4 v[122:125], v5, s[8:9]
	v_mov_b32_e32 v5, 0x2300
	global_load_dwordx4 v[68:71], v[8:9], off
	v_mad_u64_u32 v[8:9], s[2:3], s12, v5, v[12:13]
	s_mul_i32 s2, s13, 0x2300
	s_nop 0
	v_add_u32_e32 v9, s2, v9
	global_load_dwordx4 v[72:75], v[8:9], off
	global_load_dwordx4 v[138:141], v[10:11], off offset:2944
	ds_write_b128 v4, v[0:3] offset:896
	s_waitcnt vmcnt(23)
	v_mul_f64 v[0:1], v[16:17], v[94:95]
	v_mul_f64 v[2:3], v[14:15], v[94:95]
	v_fmac_f64_e32 v[0:1], v[14:15], v[92:93]
	v_fma_f64 v[2:3], v[16:17], v[92:93], -v[2:3]
	ds_write_b128 v4, v[0:3] offset:8960
	s_waitcnt vmcnt(22)
	v_mul_f64 v[0:1], v[20:21], v[78:79]
	v_mul_f64 v[2:3], v[18:19], v[78:79]
	v_fmac_f64_e32 v[0:1], v[18:19], v[76:77]
	v_fma_f64 v[2:3], v[20:21], v[76:77], -v[2:3]
	;; [unrolled: 6-line block ×5, first 2 shown]
	ds_write_b128 v4, v[0:3] offset:10752
	v_mul_f64 v[0:1], v[46:47], v[86:87]
	v_mul_f64 v[2:3], v[44:45], v[86:87]
	v_fmac_f64_e32 v[0:1], v[44:45], v[84:85]
	v_fma_f64 v[2:3], v[46:47], v[84:85], -v[2:3]
	ds_write_b128 v4, v[0:3] offset:3584
	s_waitcnt vmcnt(15)
	v_mul_f64 v[0:1], v[36:37], v[116:117]
	v_mul_f64 v[2:3], v[34:35], v[116:117]
	v_fmac_f64_e32 v[0:1], v[34:35], v[114:115]
	v_fma_f64 v[2:3], v[36:37], v[114:115], -v[2:3]
	ds_write_b128 v4, v[0:3] offset:11648
	s_waitcnt vmcnt(11)
	;; [unrolled: 6-line block ×3, first 2 shown]
	v_mul_f64 v[0:1], v[50:51], v[120:121]
	v_mul_f64 v[2:3], v[48:49], v[120:121]
	v_fmac_f64_e32 v[0:1], v[48:49], v[118:119]
	v_fma_f64 v[2:3], v[50:51], v[118:119], -v[2:3]
	ds_write_b128 v4, v[0:3] offset:12544
	v_mul_f64 v[0:1], v[54:55], v[112:113]
	v_mul_f64 v[2:3], v[52:53], v[112:113]
	v_fmac_f64_e32 v[0:1], v[52:53], v[110:111]
	v_fma_f64 v[2:3], v[54:55], v[110:111], -v[2:3]
	ds_write_b128 v4, v[0:3] offset:5376
	s_waitcnt vmcnt(7)
	v_mul_f64 v[0:1], v[58:59], v[106:107]
	v_mul_f64 v[2:3], v[56:57], v[106:107]
	v_fmac_f64_e32 v[0:1], v[56:57], v[104:105]
	v_fma_f64 v[2:3], v[58:59], v[104:105], -v[2:3]
	ds_write_b128 v4, v[0:3] offset:13440
	v_accvgpr_write_b32 a8, v76
	v_accvgpr_write_b32 a12, v80
	v_accvgpr_write_b32 a9, v77
	v_accvgpr_write_b32 a10, v78
	v_accvgpr_write_b32 a11, v79
	s_waitcnt vmcnt(5)
	v_mul_f64 v[0:1], v[62:63], v[98:99]
	v_mul_f64 v[2:3], v[60:61], v[98:99]
	v_fmac_f64_e32 v[0:1], v[60:61], v[96:97]
	v_fma_f64 v[2:3], v[62:63], v[96:97], -v[2:3]
	ds_write_b128 v4, v[0:3] offset:6272
	v_accvgpr_write_b32 a13, v81
	s_waitcnt vmcnt(4)
	v_mul_f64 v[0:1], v[66:67], v[102:103]
	v_mul_f64 v[2:3], v[64:65], v[102:103]
	v_fmac_f64_e32 v[0:1], v[64:65], v[100:101]
	v_fma_f64 v[2:3], v[66:67], v[100:101], -v[2:3]
	ds_write_b128 v4, v[0:3] offset:14336
	v_accvgpr_write_b32 a14, v82
	v_accvgpr_write_b32 a15, v83
	s_waitcnt vmcnt(2)
	v_mul_f64 v[0:1], v[70:71], v[124:125]
	v_mul_f64 v[2:3], v[68:69], v[124:125]
	v_fmac_f64_e32 v[0:1], v[68:69], v[122:123]
	v_fma_f64 v[2:3], v[70:71], v[122:123], -v[2:3]
	ds_write_b128 v4, v[0:3] offset:7168
	s_waitcnt vmcnt(0)
	v_mul_f64 v[0:1], v[74:75], v[140:141]
	v_mul_f64 v[2:3], v[72:73], v[140:141]
	v_fmac_f64_e32 v[0:1], v[72:73], v[138:139]
	v_fma_f64 v[2:3], v[74:75], v[138:139], -v[2:3]
	ds_write_b128 v4, v[0:3] offset:15232
	s_waitcnt lgkmcnt(0)
	; wave barrier
	s_waitcnt lgkmcnt(0)
	ds_read_b128 v[0:3], v4 offset:8064
	ds_read_b128 v[12:15], v4
	ds_read_b128 v[16:19], v4 offset:896
	ds_read_b128 v[20:23], v4 offset:8960
	;; [unrolled: 1-line block ×16, first 2 shown]
	s_waitcnt lgkmcnt(14)
	v_add_f64 v[80:81], v[12:13], -v[0:1]
	v_add_f64 v[82:83], v[14:15], -v[2:3]
	s_mov_b64 s[2:3], 0x70
	v_fma_f64 v[0:1], v[12:13], 2.0, -v[80:81]
	v_fma_f64 v[2:3], v[14:15], 2.0, -v[82:83]
	v_add_f64 v[12:13], v[16:17], -v[20:21]
	v_add_f64 v[14:15], v[18:19], -v[22:23]
	v_lshlrev_b32_e32 v5, 5, v6
	v_lshl_add_u64 v[10:11], v[6:7], 0, s[2:3]
	s_mov_b64 s[2:3], 0xa8
	v_fma_f64 v[16:17], v[16:17], 2.0, -v[12:13]
	v_fma_f64 v[18:19], v[18:19], 2.0, -v[14:15]
	s_waitcnt lgkmcnt(12)
	v_add_f64 v[20:21], v[28:29], -v[24:25]
	v_add_f64 v[22:23], v[30:31], -v[26:27]
	s_waitcnt lgkmcnt(0)
	; wave barrier
	s_waitcnt lgkmcnt(0)
	ds_write_b128 v5, v[0:3]
	v_lshlrev_b32_e32 v0, 5, v128
	v_lshl_add_u64 v[136:137], v[6:7], 0, s[2:3]
	v_accvgpr_write_b32 a72, v142
	s_mov_b64 s[2:3], 0xe0
	v_fma_f64 v[24:25], v[28:29], 2.0, -v[20:21]
	v_fma_f64 v[26:27], v[30:31], 2.0, -v[22:23]
	v_add_f64 v[28:29], v[32:33], -v[36:37]
	v_add_f64 v[30:31], v[34:35], -v[38:39]
	ds_write_b128 v5, v[80:83] offset:16
	ds_write_b128 v0, v[16:19]
	v_accvgpr_write_b32 a76, v0
	ds_write_b128 v0, v[12:15] offset:16
	v_lshlrev_b32_e32 v0, 5, v10
	v_accvgpr_write_b32 a73, v143
	v_accvgpr_write_b32 a74, v144
	;; [unrolled: 1-line block ×3, first 2 shown]
	v_fma_f64 v[32:33], v[32:33], 2.0, -v[28:29]
	v_fma_f64 v[34:35], v[34:35], 2.0, -v[30:31]
	v_add_f64 v[36:37], v[44:45], -v[40:41]
	v_add_f64 v[38:39], v[46:47], -v[42:43]
	v_lshl_add_u64 v[144:145], v[6:7], 0, s[2:3]
	s_mov_b64 s[2:3], 0x118
	ds_write_b128 v0, v[24:27]
	v_accvgpr_write_b32 a77, v0
	ds_write_b128 v0, v[20:23] offset:16
	v_lshlrev_b32_e32 v0, 5, v136
	v_fma_f64 v[40:41], v[44:45], 2.0, -v[36:37]
	v_fma_f64 v[42:43], v[46:47], 2.0, -v[38:39]
	v_add_f64 v[44:45], v[48:49], -v[52:53]
	v_add_f64 v[46:47], v[50:51], -v[54:55]
	v_lshl_add_u64 v[152:153], v[6:7], 0, s[2:3]
	ds_write_b128 v0, v[32:35]
	v_accvgpr_write_b32 a78, v0
	ds_write_b128 v0, v[28:31] offset:16
	v_lshlrev_b32_e32 v0, 5, v144
	v_fma_f64 v[48:49], v[48:49], 2.0, -v[44:45]
	v_fma_f64 v[50:51], v[50:51], 2.0, -v[46:47]
	v_lshlrev_b32_e32 v2, 1, v6
	ds_write_b128 v0, v[40:43]
	v_accvgpr_write_b32 a79, v0
	ds_write_b128 v0, v[36:39] offset:16
	v_lshlrev_b32_e32 v0, 5, v152
	v_add_f64 v[52:53], v[60:61], -v[56:57]
	v_add_f64 v[54:55], v[62:63], -v[58:59]
	ds_write_b128 v0, v[48:51]
	v_accvgpr_write_b32 a80, v0
	ds_write_b128 v0, v[44:47] offset:16
	v_add_u32_e32 v0, 0x2a0, v2
	v_fma_f64 v[56:57], v[60:61], 2.0, -v[52:53]
	v_fma_f64 v[58:59], v[62:63], 2.0, -v[54:55]
	v_add_f64 v[60:61], v[64:65], -v[72:73]
	v_add_f64 v[62:63], v[66:67], -v[74:75]
	v_lshlrev_b32_e32 v1, 4, v0
	v_accvgpr_write_b32 a28, v96
	v_fma_f64 v[64:65], v[64:65], 2.0, -v[60:61]
	v_fma_f64 v[66:67], v[66:67], 2.0, -v[62:63]
	v_add_f64 v[72:73], v[68:69], -v[76:77]
	v_add_f64 v[74:75], v[70:71], -v[78:79]
	v_lshlrev_b32_e32 v3, 4, v2
	v_accvgpr_write_b32 a81, v1
	ds_write_b128 v1, v[52:55] offset:16
	v_add_u32_e32 v1, 0x310, v2
	v_accvgpr_write_b32 a29, v97
	v_accvgpr_write_b32 a30, v98
	;; [unrolled: 1-line block ×3, first 2 shown]
	v_fma_f64 v[68:69], v[68:69], 2.0, -v[72:73]
	v_fma_f64 v[70:71], v[70:71], 2.0, -v[74:75]
	v_accvgpr_write_b32 a39, v5
	ds_write_b128 v3, v[56:59] offset:10752
	v_lshlrev_b32_e32 v5, 4, v1
	ds_write_b128 v3, v[64:67] offset:12544
	v_lshlrev_b32_e32 v3, 5, v108
	v_and_b32_e32 v98, 1, v6
	ds_write_b128 v5, v[60:63] offset:16
	ds_write_b128 v3, v[68:71]
	v_accvgpr_write_b32 a83, v3
	ds_write_b128 v3, v[72:75] offset:16
	v_lshlrev_b32_e32 v3, 4, v98
	s_waitcnt lgkmcnt(0)
	; wave barrier
	s_waitcnt lgkmcnt(0)
	global_load_dwordx4 v[72:75], v3, s[10:11]
	ds_read_b128 v[12:15], v4 offset:8064
	ds_read_b128 v[16:19], v4
	ds_read_b128 v[20:23], v4 offset:896
	ds_read_b128 v[24:27], v4 offset:8960
	;; [unrolled: 1-line block ×10, first 2 shown]
	v_accvgpr_write_b32 a16, v84
	v_accvgpr_write_b32 a20, v88
	;; [unrolled: 1-line block ×9, first 2 shown]
	s_movk_i32 s2, 0x7c
	v_accvgpr_write_b32 a25, v93
	v_accvgpr_write_b32 a26, v94
	;; [unrolled: 1-line block ×3, first 2 shown]
	v_and_or_b32 v3, v2, s2, v98
	v_lshlrev_b32_e32 v3, 4, v3
	s_movk_i32 s2, 0xfc
	v_accvgpr_write_b32 a84, v3
	v_lshlrev_b32_e32 v11, 1, v10
	v_accvgpr_write_b32 a82, v5
	v_lshlrev_b32_e32 v5, 1, v152
	s_movk_i32 s3, 0x2fc
	v_accvgpr_write_b32 a40, v100
	v_accvgpr_write_b32 a41, v101
	;; [unrolled: 1-line block ×24, first 2 shown]
	s_mov_b32 s13, 0xbfebb67a
	s_movk_i32 s14, 0xffd0
	s_mov_b32 s15, -1
	v_cmp_gt_u16_e32 vcc, 48, v6
	v_accvgpr_write_b32 a64, v130
	v_accvgpr_write_b32 a65, v131
	;; [unrolled: 1-line block ×8, first 2 shown]
	s_waitcnt vmcnt(0) lgkmcnt(11)
	v_mul_f64 v[8:9], v[14:15], v[74:75]
	v_fma_f64 v[8:9], v[12:13], v[72:73], -v[8:9]
	v_mul_f64 v[60:61], v[12:13], v[74:75]
	s_waitcnt lgkmcnt(8)
	v_mul_f64 v[12:13], v[26:27], v[74:75]
	v_fma_f64 v[62:63], v[24:25], v[72:73], -v[12:13]
	s_waitcnt lgkmcnt(7)
	v_mul_f64 v[12:13], v[30:31], v[74:75]
	v_fma_f64 v[66:67], v[28:29], v[72:73], -v[12:13]
	;; [unrolled: 3-line block ×3, first 2 shown]
	s_waitcnt lgkmcnt(5)
	v_mul_f64 v[12:13], v[38:39], v[74:75]
	v_mul_f64 v[68:69], v[28:29], v[74:75]
	;; [unrolled: 1-line block ×3, first 2 shown]
	v_fma_f64 v[78:79], v[36:37], v[72:73], -v[12:13]
	s_waitcnt lgkmcnt(4)
	v_mul_f64 v[12:13], v[42:43], v[74:75]
	v_fmac_f64_e32 v[68:69], v[30:31], v[72:73]
	v_fmac_f64_e32 v[76:77], v[34:35], v[72:73]
	v_fma_f64 v[82:83], v[40:41], v[72:73], -v[12:13]
	s_waitcnt lgkmcnt(3)
	v_mul_f64 v[12:13], v[46:47], v[74:75]
	ds_read_b128 v[28:31], v4 offset:1792
	ds_read_b128 v[32:35], v4 offset:2688
	v_fma_f64 v[86:87], v[44:45], v[72:73], -v[12:13]
	s_waitcnt lgkmcnt(3)
	v_mul_f64 v[12:13], v[54:55], v[74:75]
	v_fmac_f64_e32 v[60:61], v[14:15], v[72:73]
	v_fma_f64 v[90:91], v[52:53], v[72:73], -v[12:13]
	s_waitcnt lgkmcnt(2)
	v_mul_f64 v[12:13], v[58:59], v[74:75]
	v_mul_f64 v[64:65], v[24:25], v[74:75]
	v_fma_f64 v[94:95], v[56:57], v[72:73], -v[12:13]
	v_add_f64 v[12:13], v[16:17], -v[8:9]
	v_add_f64 v[14:15], v[18:19], -v[60:61]
	v_fmac_f64_e32 v[64:65], v[26:27], v[72:73]
	v_mul_f64 v[80:81], v[36:37], v[74:75]
	v_mul_f64 v[88:89], v[44:45], v[74:75]
	;; [unrolled: 1-line block ×3, first 2 shown]
	v_fma_f64 v[16:17], v[16:17], 2.0, -v[12:13]
	v_fma_f64 v[18:19], v[18:19], 2.0, -v[14:15]
	v_lshlrev_b32_e32 v9, 1, v128
	v_fmac_f64_e32 v[80:81], v[38:39], v[72:73]
	v_mul_f64 v[84:85], v[40:41], v[74:75]
	v_fmac_f64_e32 v[88:89], v[46:47], v[72:73]
	v_fmac_f64_e32 v[92:93], v[54:55], v[72:73]
	v_add_f64 v[24:25], v[20:21], -v[62:63]
	v_add_f64 v[26:27], v[22:23], -v[64:65]
	s_waitcnt lgkmcnt(1)
	v_add_f64 v[36:37], v[28:29], -v[66:67]
	v_add_f64 v[38:39], v[30:31], -v[68:69]
	s_waitcnt lgkmcnt(0)
	v_add_f64 v[40:41], v[32:33], -v[70:71]
	ds_read_b128 v[44:47], v4 offset:3584
	ds_read_b128 v[52:55], v4 offset:4480
	;; [unrolled: 1-line block ×4, first 2 shown]
	s_waitcnt lgkmcnt(0)
	; wave barrier
	s_waitcnt lgkmcnt(0)
	ds_write_b128 v3, v[16:19]
	ds_write_b128 v3, v[12:15] offset:32
	v_and_or_b32 v3, v9, s2, v98
	v_fma_f64 v[20:21], v[20:21], 2.0, -v[24:25]
	v_fma_f64 v[22:23], v[22:23], 2.0, -v[26:27]
	v_lshlrev_b32_e32 v3, 4, v3
	s_movk_i32 s2, 0x1fc
	ds_write_b128 v3, v[20:23]
	v_accvgpr_write_b32 a85, v3
	ds_write_b128 v3, v[24:27] offset:32
	v_and_or_b32 v3, v11, s2, v98
	v_fma_f64 v[28:29], v[28:29], 2.0, -v[36:37]
	v_fma_f64 v[30:31], v[30:31], 2.0, -v[38:39]
	v_lshlrev_b32_e32 v3, 4, v3
	v_lshlrev_b32_e32 v12, 1, v136
	v_fmac_f64_e32 v[84:85], v[42:43], v[72:73]
	v_add_f64 v[42:43], v[34:35], -v[76:77]
	ds_write_b128 v3, v[28:31]
	v_accvgpr_write_b32 a86, v3
	ds_write_b128 v3, v[36:39] offset:32
	v_and_or_b32 v3, v12, s2, v98
	v_mul_f64 v[96:97], v[56:57], v[74:75]
	v_fma_f64 v[32:33], v[32:33], 2.0, -v[40:41]
	v_fma_f64 v[34:35], v[34:35], 2.0, -v[42:43]
	v_lshlrev_b32_e32 v13, 4, v3
	v_lshlrev_b32_e32 v8, 1, v144
	s_movk_i32 s2, 0x3fc
	v_fmac_f64_e32 v[96:97], v[58:59], v[72:73]
	v_add_f64 v[56:57], v[44:45], -v[78:79]
	v_add_f64 v[58:59], v[46:47], -v[80:81]
	ds_write_b128 v13, v[32:35]
	v_accvgpr_write_b32 a87, v13
	ds_write_b128 v13, v[40:43] offset:32
	v_and_or_b32 v13, v8, s2, v98
	v_fma_f64 v[44:45], v[44:45], 2.0, -v[56:57]
	v_fma_f64 v[46:47], v[46:47], 2.0, -v[58:59]
	v_lshlrev_b32_e32 v13, 4, v13
	v_add_f64 v[60:61], v[52:53], -v[82:83]
	v_add_f64 v[62:63], v[54:55], -v[84:85]
	ds_write_b128 v13, v[44:47]
	v_accvgpr_write_b32 a88, v13
	ds_write_b128 v13, v[56:59] offset:32
	v_and_or_b32 v13, v5, s3, v98
	v_fma_f64 v[52:53], v[52:53], 2.0, -v[60:61]
	v_fma_f64 v[54:55], v[54:55], 2.0, -v[62:63]
	v_lshlrev_b32_e32 v13, 4, v13
	;; [unrolled: 9-line block ×4, first 2 shown]
	v_lshlrev_b32_e32 v13, 4, v13
	v_add_f64 v[84:85], v[48:49], -v[94:95]
	v_add_f64 v[86:87], v[50:51], -v[96:97]
	ds_write_b128 v13, v[68:71]
	v_accvgpr_write_b32 a91, v13
	ds_write_b128 v13, v[80:83] offset:32
	v_and_or_b32 v13, v3, s2, v98
	v_fma_f64 v[48:49], v[48:49], 2.0, -v[84:85]
	v_fma_f64 v[50:51], v[50:51], 2.0, -v[86:87]
	v_lshlrev_b32_e32 v13, 4, v13
	ds_write_b128 v13, v[48:51]
	v_accvgpr_write_b32 a92, v13
	ds_write_b128 v13, v[84:87] offset:32
	v_and_b32_e32 v13, 3, v6
	v_lshlrev_b32_e32 v14, 4, v13
	s_waitcnt lgkmcnt(0)
	; wave barrier
	s_waitcnt lgkmcnt(0)
	global_load_dwordx4 v[76:79], v14, s[10:11] offset:32
	ds_read_b128 v[14:17], v4 offset:8064
	ds_read_b128 v[18:21], v4 offset:8960
	;; [unrolled: 1-line block ×8, first 2 shown]
	s_movk_i32 s2, 0x78
	ds_read_b128 v[80:83], v4 offset:6272
	s_movk_i32 s3, 0x2f8
	s_waitcnt vmcnt(0) lgkmcnt(8)
	v_mul_f64 v[46:47], v[16:17], v[78:79]
	v_fma_f64 v[46:47], v[14:15], v[76:77], -v[46:47]
	v_mul_f64 v[48:49], v[14:15], v[78:79]
	s_waitcnt lgkmcnt(7)
	v_mul_f64 v[14:15], v[20:21], v[78:79]
	v_fma_f64 v[50:51], v[18:19], v[76:77], -v[14:15]
	s_waitcnt lgkmcnt(6)
	v_mul_f64 v[14:15], v[24:25], v[78:79]
	v_fma_f64 v[54:55], v[22:23], v[76:77], -v[14:15]
	;; [unrolled: 3-line block ×4, first 2 shown]
	s_waitcnt lgkmcnt(3)
	v_mul_f64 v[14:15], v[36:37], v[78:79]
	v_fmac_f64_e32 v[48:49], v[16:17], v[76:77]
	v_mul_f64 v[52:53], v[18:19], v[78:79]
	v_fma_f64 v[66:67], v[34:35], v[76:77], -v[14:15]
	s_waitcnt lgkmcnt(2)
	v_mul_f64 v[18:19], v[40:41], v[78:79]
	ds_read_b128 v[14:17], v4 offset:14336
	v_fmac_f64_e32 v[52:53], v[20:21], v[76:77]
	v_fma_f64 v[84:85], v[38:39], v[76:77], -v[18:19]
	ds_read_b128 v[18:21], v4 offset:15232
	v_mul_f64 v[56:57], v[22:23], v[78:79]
	s_waitcnt lgkmcnt(1)
	v_mul_f64 v[22:23], v[16:17], v[78:79]
	v_mul_f64 v[64:65], v[30:31], v[78:79]
	v_fma_f64 v[88:89], v[14:15], v[76:77], -v[22:23]
	v_mul_f64 v[90:91], v[14:15], v[78:79]
	s_waitcnt lgkmcnt(0)
	v_mul_f64 v[22:23], v[20:21], v[78:79]
	v_mul_f64 v[94:95], v[18:19], v[78:79]
	v_fmac_f64_e32 v[64:65], v[32:33], v[76:77]
	v_fmac_f64_e32 v[90:91], v[16:17], v[76:77]
	ds_read_b128 v[14:17], v4
	v_fma_f64 v[92:93], v[18:19], v[76:77], -v[22:23]
	v_fmac_f64_e32 v[94:95], v[20:21], v[76:77]
	ds_read_b128 v[18:21], v4 offset:896
	ds_read_b128 v[30:33], v4 offset:1792
	v_fmac_f64_e32 v[56:57], v[24:25], v[76:77]
	v_mul_f64 v[60:61], v[26:27], v[78:79]
	v_mul_f64 v[70:71], v[34:35], v[78:79]
	;; [unrolled: 1-line block ×3, first 2 shown]
	v_fmac_f64_e32 v[60:61], v[28:29], v[76:77]
	v_fmac_f64_e32 v[70:71], v[36:37], v[76:77]
	ds_read_b128 v[34:37], v4 offset:2688
	v_fmac_f64_e32 v[86:87], v[40:41], v[76:77]
	s_waitcnt lgkmcnt(2)
	v_add_f64 v[26:27], v[18:19], -v[50:51]
	v_add_f64 v[28:29], v[20:21], -v[52:53]
	s_waitcnt lgkmcnt(1)
	v_add_f64 v[38:39], v[30:31], -v[54:55]
	v_add_f64 v[40:41], v[32:33], -v[56:57]
	ds_read_b128 v[50:53], v4 offset:3584
	ds_read_b128 v[54:57], v4 offset:4480
	v_add_f64 v[22:23], v[14:15], -v[46:47]
	v_add_f64 v[24:25], v[16:17], -v[48:49]
	s_waitcnt lgkmcnt(2)
	v_add_f64 v[48:49], v[36:37], -v[60:61]
	s_waitcnt lgkmcnt(1)
	;; [unrolled: 2-line block ×3, first 2 shown]
	v_add_f64 v[64:65], v[56:57], -v[70:71]
	v_and_or_b32 v70, v2, s2, v13
	v_fma_f64 v[14:15], v[14:15], 2.0, -v[22:23]
	v_fma_f64 v[16:17], v[16:17], 2.0, -v[24:25]
	v_lshlrev_b32_e32 v70, 4, v70
	s_movk_i32 s2, 0xf8
	v_add_f64 v[46:47], v[34:35], -v[58:59]
	v_add_f64 v[58:59], v[50:51], -v[62:63]
	;; [unrolled: 1-line block ×3, first 2 shown]
	ds_read_b128 v[66:69], v4 offset:5376
	s_waitcnt lgkmcnt(0)
	; wave barrier
	s_waitcnt lgkmcnt(0)
	ds_write_b128 v70, v[14:17]
	v_and_or_b32 v14, v9, s2, v13
	v_fma_f64 v[18:19], v[18:19], 2.0, -v[26:27]
	v_fma_f64 v[20:21], v[20:21], 2.0, -v[28:29]
	v_lshlrev_b32_e32 v14, 4, v14
	s_movk_i32 s2, 0x1f8
	ds_write_b128 v70, v[22:25] offset:64
	ds_write_b128 v14, v[18:21]
	v_accvgpr_write_b32 a94, v14
	ds_write_b128 v14, v[26:29] offset:64
	v_and_or_b32 v14, v11, s2, v13
	v_fma_f64 v[30:31], v[30:31], 2.0, -v[38:39]
	v_fma_f64 v[32:33], v[32:33], 2.0, -v[40:41]
	v_lshlrev_b32_e32 v14, 4, v14
	ds_write_b128 v14, v[30:33]
	v_accvgpr_write_b32 a95, v14
	ds_write_b128 v14, v[38:41] offset:64
	v_and_or_b32 v14, v12, s2, v13
	v_fma_f64 v[34:35], v[34:35], 2.0, -v[46:47]
	v_fma_f64 v[36:37], v[36:37], 2.0, -v[48:49]
	v_lshlrev_b32_e32 v14, 4, v14
	s_movk_i32 s2, 0x3f8
	ds_write_b128 v14, v[34:37]
	v_accvgpr_write_b32 a96, v14
	ds_write_b128 v14, v[46:49] offset:64
	v_and_or_b32 v14, v8, s2, v13
	v_fma_f64 v[50:51], v[50:51], 2.0, -v[58:59]
	v_fma_f64 v[52:53], v[52:53], 2.0, -v[60:61]
	v_lshlrev_b32_e32 v14, 4, v14
	ds_write_b128 v14, v[50:53]
	v_accvgpr_write_b32 a97, v14
	ds_write_b128 v14, v[58:61] offset:64
	v_and_or_b32 v14, v5, s3, v13
	v_fma_f64 v[54:55], v[54:55], 2.0, -v[62:63]
	v_fma_f64 v[56:57], v[56:57], 2.0, -v[64:65]
	v_lshlrev_b32_e32 v14, 4, v14
	v_add_f64 v[84:85], v[66:67], -v[84:85]
	v_add_f64 v[86:87], v[68:69], -v[86:87]
	ds_write_b128 v14, v[54:57]
	v_accvgpr_write_b32 a98, v14
	ds_write_b128 v14, v[62:65] offset:64
	v_and_or_b32 v14, v0, s2, v13
	v_fma_f64 v[66:67], v[66:67], 2.0, -v[84:85]
	v_fma_f64 v[68:69], v[68:69], 2.0, -v[86:87]
	v_lshlrev_b32_e32 v14, 4, v14
	v_add_f64 v[88:89], v[80:81], -v[88:89]
	v_add_f64 v[90:91], v[82:83], -v[90:91]
	;; [unrolled: 1-line block ×4, first 2 shown]
	ds_write_b128 v14, v[66:69]
	v_accvgpr_write_b32 a99, v14
	ds_write_b128 v14, v[84:87] offset:64
	v_and_or_b32 v14, v1, s2, v13
	v_and_or_b32 v13, v3, s2, v13
	v_fma_f64 v[80:81], v[80:81], 2.0, -v[88:89]
	v_fma_f64 v[82:83], v[82:83], 2.0, -v[90:91]
	;; [unrolled: 1-line block ×4, first 2 shown]
	v_lshlrev_b32_e32 v14, 4, v14
	v_lshlrev_b32_e32 v13, 4, v13
	ds_write_b128 v14, v[80:83]
	ds_write_b128 v14, v[88:91] offset:64
	ds_write_b128 v13, v[42:45]
	v_accvgpr_write_b32 a101, v13
	ds_write_b128 v13, v[92:95] offset:64
	v_and_b32_e32 v13, 7, v6
	v_accvgpr_write_b32 a100, v14
	v_lshlrev_b32_e32 v14, 4, v13
	s_waitcnt lgkmcnt(0)
	; wave barrier
	s_waitcnt lgkmcnt(0)
	global_load_dwordx4 v[80:83], v14, s[10:11] offset:96
	ds_read_b128 v[14:17], v4 offset:8064
	ds_read_b128 v[18:21], v4 offset:8960
	;; [unrolled: 1-line block ×4, first 2 shown]
	v_accvgpr_write_b32 a93, v70
	s_movk_i32 s2, 0x70
	v_and_or_b32 v2, v2, s2, v13
	v_lshlrev_b32_e32 v2, 4, v2
	s_movk_i32 s2, 0xf0
	ds_read_b128 v[50:53], v4 offset:3584
	ds_read_b128 v[54:57], v4 offset:4480
	;; [unrolled: 1-line block ×4, first 2 shown]
	v_accvgpr_write_b32 a102, v2
	s_movk_i32 s3, 0x2f0
	s_waitcnt vmcnt(0) lgkmcnt(7)
	v_mul_f64 v[30:31], v[16:17], v[82:83]
	v_fma_f64 v[30:31], v[14:15], v[80:81], -v[30:31]
	v_mul_f64 v[32:33], v[14:15], v[82:83]
	s_waitcnt lgkmcnt(6)
	v_mul_f64 v[14:15], v[20:21], v[82:83]
	v_fmac_f64_e32 v[32:33], v[16:17], v[80:81]
	v_fma_f64 v[34:35], v[18:19], v[80:81], -v[14:15]
	v_mul_f64 v[38:39], v[18:19], v[82:83]
	s_waitcnt lgkmcnt(5)
	v_mul_f64 v[18:19], v[24:25], v[82:83]
	ds_read_b128 v[14:17], v4 offset:10752
	v_fmac_f64_e32 v[38:39], v[20:21], v[80:81]
	v_fma_f64 v[42:43], v[22:23], v[80:81], -v[18:19]
	ds_read_b128 v[18:21], v4 offset:11648
	v_mul_f64 v[44:45], v[22:23], v[82:83]
	s_waitcnt lgkmcnt(1)
	v_mul_f64 v[22:23], v[16:17], v[82:83]
	v_mul_f64 v[48:49], v[14:15], v[82:83]
	v_fma_f64 v[46:47], v[14:15], v[80:81], -v[22:23]
	v_fmac_f64_e32 v[48:49], v[16:17], v[80:81]
	s_waitcnt lgkmcnt(0)
	v_mul_f64 v[22:23], v[20:21], v[82:83]
	ds_read_b128 v[14:17], v4 offset:12544
	v_mul_f64 v[60:61], v[18:19], v[82:83]
	v_fma_f64 v[58:59], v[18:19], v[80:81], -v[22:23]
	v_fmac_f64_e32 v[60:61], v[20:21], v[80:81]
	ds_read_b128 v[18:21], v4 offset:13440
	s_waitcnt lgkmcnt(1)
	v_mul_f64 v[22:23], v[16:17], v[82:83]
	v_mul_f64 v[64:65], v[14:15], v[82:83]
	v_fma_f64 v[62:63], v[14:15], v[80:81], -v[22:23]
	v_fmac_f64_e32 v[64:65], v[16:17], v[80:81]
	s_waitcnt lgkmcnt(0)
	v_mul_f64 v[22:23], v[20:21], v[82:83]
	ds_read_b128 v[14:17], v4 offset:14336
	v_mul_f64 v[90:91], v[18:19], v[82:83]
	v_fma_f64 v[70:71], v[18:19], v[80:81], -v[22:23]
	v_fmac_f64_e32 v[90:91], v[20:21], v[80:81]
	ds_read_b128 v[18:21], v4 offset:15232
	s_waitcnt lgkmcnt(1)
	v_mul_f64 v[22:23], v[16:17], v[82:83]
	v_fma_f64 v[92:93], v[14:15], v[80:81], -v[22:23]
	v_mul_f64 v[94:95], v[14:15], v[82:83]
	v_fmac_f64_e32 v[94:95], v[16:17], v[80:81]
	s_waitcnt lgkmcnt(0)
	v_mul_f64 v[22:23], v[20:21], v[82:83]
	v_mul_f64 v[98:99], v[18:19], v[82:83]
	ds_read_b128 v[14:17], v4
	v_fma_f64 v[96:97], v[18:19], v[80:81], -v[22:23]
	v_fmac_f64_e32 v[98:99], v[20:21], v[80:81]
	ds_read_b128 v[18:21], v4 offset:896
	v_fmac_f64_e32 v[44:45], v[24:25], v[80:81]
	s_waitcnt lgkmcnt(1)
	v_add_f64 v[22:23], v[14:15], -v[30:31]
	v_add_f64 v[24:25], v[16:17], -v[32:33]
	v_fma_f64 v[14:15], v[14:15], 2.0, -v[22:23]
	s_waitcnt lgkmcnt(0)
	v_add_f64 v[30:31], v[18:19], -v[34:35]
	ds_read_b128 v[34:37], v4 offset:1792
	v_fma_f64 v[16:17], v[16:17], 2.0, -v[24:25]
	v_add_f64 v[32:33], v[20:21], -v[38:39]
	ds_read_b128 v[38:41], v4 offset:2688
	s_waitcnt lgkmcnt(0)
	; wave barrier
	s_waitcnt lgkmcnt(0)
	ds_write_b128 v2, v[14:17]
	ds_write_b128 v2, v[22:25] offset:128
	v_and_or_b32 v2, v9, s2, v13
	v_fma_f64 v[18:19], v[18:19], 2.0, -v[30:31]
	v_fma_f64 v[20:21], v[20:21], 2.0, -v[32:33]
	v_lshlrev_b32_e32 v2, 4, v2
	s_movk_i32 s2, 0x1f0
	v_add_f64 v[42:43], v[34:35], -v[42:43]
	v_add_f64 v[44:45], v[36:37], -v[44:45]
	ds_write_b128 v2, v[18:21]
	v_accvgpr_write_b32 a103, v2
	ds_write_b128 v2, v[30:33] offset:128
	v_and_or_b32 v2, v11, s2, v13
	v_fma_f64 v[34:35], v[34:35], 2.0, -v[42:43]
	v_fma_f64 v[36:37], v[36:37], 2.0, -v[44:45]
	v_lshlrev_b32_e32 v2, 4, v2
	v_add_f64 v[46:47], v[38:39], -v[46:47]
	v_add_f64 v[48:49], v[40:41], -v[48:49]
	ds_write_b128 v2, v[34:37]
	v_accvgpr_write_b32 a104, v2
	ds_write_b128 v2, v[42:45] offset:128
	v_and_or_b32 v2, v12, s2, v13
	v_fma_f64 v[38:39], v[38:39], 2.0, -v[46:47]
	v_fma_f64 v[40:41], v[40:41], 2.0, -v[48:49]
	v_lshlrev_b32_e32 v2, 4, v2
	s_movk_i32 s2, 0x3f0
	v_add_f64 v[58:59], v[50:51], -v[58:59]
	v_add_f64 v[60:61], v[52:53], -v[60:61]
	ds_write_b128 v2, v[38:41]
	v_accvgpr_write_b32 a105, v2
	ds_write_b128 v2, v[46:49] offset:128
	v_and_or_b32 v2, v8, s2, v13
	v_fma_f64 v[50:51], v[50:51], 2.0, -v[58:59]
	v_fma_f64 v[52:53], v[52:53], 2.0, -v[60:61]
	v_lshlrev_b32_e32 v2, 4, v2
	v_add_f64 v[62:63], v[54:55], -v[62:63]
	v_add_f64 v[64:65], v[56:57], -v[64:65]
	v_add_f64 v[88:89], v[66:67], -v[70:71]
	v_add_f64 v[90:91], v[68:69], -v[90:91]
	ds_write_b128 v2, v[50:53]
	v_accvgpr_write_b32 a106, v2
	ds_write_b128 v2, v[58:61] offset:128
	v_and_or_b32 v2, v5, s3, v13
	v_and_or_b32 v0, v0, s2, v13
	v_fma_f64 v[54:55], v[54:55], 2.0, -v[62:63]
	v_fma_f64 v[56:57], v[56:57], 2.0, -v[64:65]
	;; [unrolled: 1-line block ×4, first 2 shown]
	v_lshlrev_b32_e32 v2, 4, v2
	v_lshlrev_b32_e32 v0, 4, v0
	v_add_f64 v[92:93], v[84:85], -v[92:93]
	v_add_f64 v[94:95], v[86:87], -v[94:95]
	ds_write_b128 v2, v[54:57]
	ds_write_b128 v2, v[62:65] offset:128
	ds_write_b128 v0, v[66:69]
	v_accvgpr_write_b32 a108, v0
	ds_write_b128 v0, v[88:91] offset:128
	v_and_or_b32 v0, v1, s2, v13
	v_fma_f64 v[84:85], v[84:85], 2.0, -v[92:93]
	v_fma_f64 v[86:87], v[86:87], 2.0, -v[94:95]
	v_lshlrev_b32_e32 v0, 4, v0
	v_add_f64 v[96:97], v[26:27], -v[96:97]
	v_add_f64 v[98:99], v[28:29], -v[98:99]
	ds_write_b128 v0, v[84:87]
	v_accvgpr_write_b32 a109, v0
	ds_write_b128 v0, v[92:95] offset:128
	v_and_or_b32 v0, v3, s2, v13
	v_fma_f64 v[26:27], v[26:27], 2.0, -v[96:97]
	v_fma_f64 v[28:29], v[28:29], 2.0, -v[98:99]
	v_lshlrev_b32_e32 v0, 4, v0
	v_and_b32_e32 v5, 15, v6
	ds_write_b128 v0, v[26:29]
	v_accvgpr_write_b32 a110, v0
	ds_write_b128 v0, v[96:99] offset:128
	v_lshlrev_b32_e32 v0, 5, v5
	s_waitcnt lgkmcnt(0)
	; wave barrier
	s_waitcnt lgkmcnt(0)
	global_load_dwordx4 v[88:91], v0, s[10:11] offset:224
	global_load_dwordx4 v[84:87], v0, s[10:11] offset:240
	v_and_b32_e32 v11, 15, v152
	v_and_b32_e32 v66, 15, v128
	v_lshlrev_b32_e32 v1, 5, v11
	v_lshlrev_b32_e32 v0, 5, v66
	global_load_dwordx4 v[92:95], v1, s[10:11] offset:224
	global_load_dwordx2 v[20:21], v0, s[10:11] offset:224
	global_load_dwordx4 v[96:99], v1, s[10:11] offset:240
	global_load_dwordx4 v[100:103], v1, s[10:11] offset:232
	v_and_b32_e32 v67, 15, v136
	v_lshlrev_b32_e32 v0, 5, v67
	global_load_dwordx4 v[104:107], v0, s[10:11] offset:224
	global_load_dwordx4 v[108:111], v0, s[10:11] offset:240
	global_load_dwordx2 v[22:23], v1, s[10:11] offset:248
	v_accvgpr_write_b32 a107, v2
	ds_read_b128 v[0:3], v4 offset:5376
	ds_read_b128 v[12:15], v4 offset:6272
	ds_read_b128 v[16:19], v4 offset:10752
	ds_read_b128 v[32:35], v4 offset:13440
	ds_read_b128 v[58:61], v4 offset:14336
	v_lshrrev_b32_e32 v68, 4, v6
	ds_read_b128 v[124:127], v4 offset:896
	v_mul_u32_u24_e32 v68, 48, v68
	v_or_b32_e32 v68, v68, v5
	v_lshlrev_b32_e32 v68, 4, v68
	s_mov_b32 s2, 0xe8584caa
	s_mov_b32 s3, 0x3febb67a
	;; [unrolled: 1-line block ×3, first 2 shown]
	v_accvgpr_write_b32 a115, v68
	s_waitcnt vmcnt(8) lgkmcnt(5)
	v_mul_f64 v[8:9], v[2:3], v[90:91]
	v_mul_f64 v[52:53], v[0:1], v[90:91]
	v_fma_f64 v[50:51], v[0:1], v[88:89], -v[8:9]
	v_fmac_f64_e32 v[52:53], v[2:3], v[88:89]
	ds_read_b128 v[0:3], v4 offset:11648
	s_waitcnt vmcnt(7) lgkmcnt(4)
	v_mul_f64 v[8:9], v[18:19], v[86:87]
	v_fma_f64 v[54:55], v[16:17], v[84:85], -v[8:9]
	s_waitcnt vmcnt(6)
	v_mul_f64 v[8:9], v[14:15], v[94:95]
	v_mul_f64 v[42:43], v[12:13], v[94:95]
	;; [unrolled: 1-line block ×3, first 2 shown]
	s_waitcnt vmcnt(5)
	v_fma_f64 v[38:39], v[12:13], v[20:21], -v[8:9]
	v_fmac_f64_e32 v[42:43], v[14:15], v[20:21]
	ds_read_b128 v[12:15], v4 offset:7168
	v_fmac_f64_e32 v[56:57], v[18:19], v[84:85]
	s_waitcnt vmcnt(4) lgkmcnt(1)
	v_mul_f64 v[8:9], v[2:3], v[98:99]
	v_mul_f64 v[48:49], v[0:1], v[98:99]
	ds_read_b128 v[16:19], v4 offset:12544
	s_waitcnt vmcnt(3)
	v_fma_f64 v[44:45], v[0:1], v[102:103], -v[8:9]
	v_fmac_f64_e32 v[48:49], v[2:3], v[102:103]
	ds_read_b128 v[0:3], v4 offset:8064
	v_accvgpr_write_b32 a113, v21
	s_waitcnt lgkmcnt(2)
	v_mul_f64 v[8:9], v[14:15], v[90:91]
	v_accvgpr_write_b32 a112, v20
	v_fma_f64 v[20:21], v[12:13], v[88:89], -v[8:9]
	s_waitcnt lgkmcnt(1)
	v_mul_f64 v[8:9], v[18:19], v[86:87]
	v_mul_f64 v[24:25], v[12:13], v[90:91]
	v_fma_f64 v[26:27], v[16:17], v[84:85], -v[8:9]
	s_waitcnt vmcnt(2) lgkmcnt(0)
	v_mul_f64 v[8:9], v[2:3], v[106:107]
	v_mul_f64 v[12:13], v[0:1], v[106:107]
	v_fma_f64 v[8:9], v[0:1], v[104:105], -v[8:9]
	v_fmac_f64_e32 v[12:13], v[2:3], v[104:105]
	ds_read_b128 v[0:3], v4 offset:8960
	v_mul_f64 v[30:31], v[16:17], v[86:87]
	v_fmac_f64_e32 v[24:25], v[14:15], v[88:89]
	v_fmac_f64_e32 v[30:31], v[18:19], v[84:85]
	ds_read_b128 v[16:19], v4 offset:9856
	s_waitcnt vmcnt(1)
	v_mul_f64 v[14:15], v[34:35], v[110:111]
	v_fma_f64 v[40:41], v[32:33], v[108:109], -v[14:15]
	v_mul_f64 v[46:47], v[32:33], v[110:111]
	s_waitcnt lgkmcnt(1)
	v_mul_f64 v[14:15], v[2:3], v[90:91]
	v_mul_f64 v[32:33], v[0:1], v[90:91]
	v_fma_f64 v[28:29], v[0:1], v[88:89], -v[14:15]
	v_fmac_f64_e32 v[32:33], v[2:3], v[88:89]
	ds_read_b128 v[0:3], v4 offset:15232
	v_mul_f64 v[14:15], v[60:61], v[86:87]
	v_mul_f64 v[36:37], v[58:59], v[86:87]
	v_fmac_f64_e32 v[46:47], v[34:35], v[108:109]
	v_fma_f64 v[34:35], v[58:59], v[84:85], -v[14:15]
	v_fmac_f64_e32 v[36:37], v[60:61], v[84:85]
	ds_read_b128 v[58:61], v4
	s_waitcnt lgkmcnt(2)
	v_mul_f64 v[14:15], v[18:19], v[100:101]
	v_fma_f64 v[14:15], v[16:17], v[92:93], -v[14:15]
	v_mul_f64 v[16:17], v[16:17], v[100:101]
	v_fmac_f64_e32 v[16:17], v[18:19], v[92:93]
	s_waitcnt vmcnt(0) lgkmcnt(1)
	v_mul_f64 v[18:19], v[2:3], v[22:23]
	v_accvgpr_write_b32 a117, v23
	v_fma_f64 v[18:19], v[0:1], v[96:97], -v[18:19]
	v_accvgpr_write_b32 a116, v22
	v_mul_f64 v[22:23], v[0:1], v[22:23]
	s_waitcnt lgkmcnt(0)
	v_add_f64 v[0:1], v[58:59], v[50:51]
	v_add_f64 v[62:63], v[0:1], v[54:55]
	;; [unrolled: 1-line block ×4, first 2 shown]
	v_fmac_f64_e32 v[22:23], v[2:3], v[96:97]
	ds_read_b128 v[120:123], v4 offset:1792
	ds_read_b128 v[116:119], v4 offset:2688
	;; [unrolled: 1-line block ×4, first 2 shown]
	s_waitcnt lgkmcnt(0)
	; wave barrier
	s_waitcnt lgkmcnt(0)
	ds_write_b128 v68, v[62:65]
	v_add_f64 v[62:63], v[50:51], v[54:55]
	v_fmac_f64_e32 v[58:59], -0.5, v[62:63]
	v_add_f64 v[62:63], v[52:53], -v[56:57]
	v_add_f64 v[52:53], v[52:53], v[56:57]
	v_fmac_f64_e32 v[60:61], -0.5, v[52:53]
	v_add_f64 v[54:55], v[50:51], -v[54:55]
	v_fma_f64 v[52:53], s[12:13], v[54:55], v[60:61]
	v_fmac_f64_e32 v[60:61], s[2:3], v[54:55]
	v_lshrrev_b32_e32 v54, 4, v128
	v_fma_f64 v[50:51], s[2:3], v[62:63], v[58:59]
	v_mul_u32_u24_e32 v54, 48, v54
	ds_write_b128 v68, v[50:53] offset:256
	v_add_f64 v[50:51], v[124:125], v[38:39]
	v_add_f64 v[52:53], v[126:127], v[42:43]
	v_or_b32_e32 v54, v54, v66
	v_fmac_f64_e32 v[58:59], s[12:13], v[62:63]
	v_add_f64 v[50:51], v[50:51], v[44:45]
	v_add_f64 v[52:53], v[52:53], v[48:49]
	v_lshlrev_b32_e32 v54, 4, v54
	ds_write_b128 v68, v[58:61] offset:512
	ds_write_b128 v54, v[50:53]
	v_add_f64 v[50:51], v[38:39], v[44:45]
	v_fmac_f64_e32 v[124:125], -0.5, v[50:51]
	v_add_f64 v[50:51], v[42:43], -v[48:49]
	v_add_f64 v[42:43], v[42:43], v[48:49]
	v_fmac_f64_e32 v[126:127], -0.5, v[42:43]
	v_add_f64 v[38:39], v[38:39], -v[44:45]
	v_fma_f64 v[42:43], s[2:3], v[50:51], v[124:125]
	v_fma_f64 v[44:45], s[12:13], v[38:39], v[126:127]
	v_fmac_f64_e32 v[126:127], s[2:3], v[38:39]
	v_add_f64 v[38:39], v[120:121], v[20:21]
	ds_write_b128 v54, v[42:45] offset:256
	v_add_f64 v[42:43], v[38:39], v[26:27]
	v_add_f64 v[38:39], v[122:123], v[24:25]
	;; [unrolled: 1-line block ×3, first 2 shown]
	v_lshrrev_b32_e32 v38, 4, v10
	v_mul_u32_u24_e32 v38, 48, v38
	v_or_b32_e32 v38, v38, v5
	v_lshlrev_b32_e32 v48, 4, v38
	v_add_f64 v[38:39], v[20:21], v[26:27]
	v_fmac_f64_e32 v[120:121], -0.5, v[38:39]
	v_add_f64 v[38:39], v[24:25], -v[30:31]
	v_add_f64 v[24:25], v[24:25], v[30:31]
	v_fmac_f64_e32 v[122:123], -0.5, v[24:25]
	v_add_f64 v[20:21], v[20:21], -v[26:27]
	v_fmac_f64_e32 v[124:125], s[12:13], v[50:51]
	v_fma_f64 v[24:25], s[2:3], v[38:39], v[120:121]
	v_fma_f64 v[26:27], s[12:13], v[20:21], v[122:123]
	v_fmac_f64_e32 v[122:123], s[2:3], v[20:21]
	v_add_f64 v[20:21], v[116:117], v[8:9]
	ds_write_b128 v54, v[124:127] offset:512
	ds_write_b128 v48, v[24:27] offset:256
	v_add_f64 v[24:25], v[20:21], v[40:41]
	v_add_f64 v[20:21], v[118:119], v[12:13]
	;; [unrolled: 1-line block ×3, first 2 shown]
	v_lshrrev_b32_e32 v20, 4, v136
	v_mul_u32_u24_e32 v20, 48, v20
	v_or_b32_e32 v20, v20, v67
	v_lshlrev_b32_e32 v30, 4, v20
	v_add_f64 v[20:21], v[8:9], v[40:41]
	v_fmac_f64_e32 v[116:117], -0.5, v[20:21]
	v_add_f64 v[20:21], v[12:13], -v[46:47]
	v_add_f64 v[12:13], v[12:13], v[46:47]
	v_fmac_f64_e32 v[120:121], s[12:13], v[38:39]
	v_fmac_f64_e32 v[118:119], -0.5, v[12:13]
	v_add_f64 v[8:9], v[8:9], -v[40:41]
	ds_write_b128 v48, v[42:45]
	ds_write_b128 v48, v[120:123] offset:512
	ds_write_b128 v30, v[24:27]
	v_fma_f64 v[24:25], s[2:3], v[20:21], v[116:117]
	v_fma_f64 v[26:27], s[12:13], v[8:9], v[118:119]
	v_fmac_f64_e32 v[118:119], s[2:3], v[8:9]
	v_add_f64 v[8:9], v[112:113], v[28:29]
	ds_write_b128 v30, v[24:27] offset:256
	v_add_f64 v[24:25], v[8:9], v[34:35]
	v_add_f64 v[8:9], v[114:115], v[32:33]
	v_add_f64 v[26:27], v[8:9], v[36:37]
	v_lshrrev_b32_e32 v8, 4, v144
	v_mul_u32_u24_e32 v8, 48, v8
	v_or_b32_e32 v5, v8, v5
	v_add_f64 v[8:9], v[28:29], v[34:35]
	v_add_f64 v[12:13], v[32:33], v[36:37]
	v_fmac_f64_e32 v[116:117], s[12:13], v[20:21]
	v_lshlrev_b32_e32 v5, 4, v5
	v_fmac_f64_e32 v[112:113], -0.5, v[8:9]
	v_add_f64 v[8:9], v[32:33], -v[36:37]
	v_fmac_f64_e32 v[114:115], -0.5, v[12:13]
	v_add_f64 v[12:13], v[28:29], -v[34:35]
	ds_write_b128 v30, v[116:119] offset:512
	ds_write_b128 v5, v[24:27]
	v_fma_f64 v[24:25], s[2:3], v[8:9], v[112:113]
	v_fma_f64 v[26:27], s[12:13], v[12:13], v[114:115]
	v_fmac_f64_e32 v[112:113], s[12:13], v[8:9]
	v_fmac_f64_e32 v[114:115], s[2:3], v[12:13]
	v_add_f64 v[8:9], v[0:1], v[14:15]
	ds_write_b128 v5, v[24:27] offset:256
	v_accvgpr_write_b32 a121, v5
	ds_write_b128 v5, v[112:115] offset:512
	v_add_f64 v[24:25], v[8:9], v[18:19]
	v_add_f64 v[8:9], v[2:3], v[16:17]
	v_lshrrev_b32_e32 v5, 4, v152
	v_add_f64 v[26:27], v[8:9], v[22:23]
	v_mul_u32_u24_e32 v5, 48, v5
	v_add_f64 v[8:9], v[14:15], v[18:19]
	v_add_f64 v[12:13], v[16:17], v[22:23]
	v_or_b32_e32 v5, v5, v11
	v_fmac_f64_e32 v[0:1], -0.5, v[8:9]
	v_add_f64 v[8:9], v[16:17], -v[22:23]
	v_fmac_f64_e32 v[2:3], -0.5, v[12:13]
	v_add_f64 v[16:17], v[14:15], -v[18:19]
	v_lshlrev_b32_e32 v5, 4, v5
	v_fma_f64 v[12:13], s[2:3], v[8:9], v[0:1]
	v_fma_f64 v[14:15], s[12:13], v[16:17], v[2:3]
	v_fmac_f64_e32 v[0:1], s[12:13], v[8:9]
	v_fmac_f64_e32 v[2:3], s[2:3], v[16:17]
	ds_write_b128 v5, v[0:3] offset:512
	v_lshl_add_u64 v[0:1], v[6:7], 0, s[14:15]
	v_cndmask_b32_e64 v9, v1, 0, vcc
	v_cndmask_b32_e32 v8, v0, v6, vcc
	v_lshlrev_b64 v[0:1], 5, v[8:9]
	v_lshl_add_u64 v[0:1], s[10:11], 0, v[0:1]
	s_movk_i32 s14, 0xab
	ds_write_b128 v5, v[24:27]
	ds_write_b128 v5, v[12:15] offset:256
	s_waitcnt lgkmcnt(0)
	; wave barrier
	s_waitcnt lgkmcnt(0)
	global_load_dwordx4 v[112:115], v[0:1], off offset:736
	global_load_dwordx4 v[116:119], v[0:1], off offset:752
	v_mul_lo_u16_sdwa v0, v128, s14 dst_sel:DWORD dst_unused:UNUSED_PAD src0_sel:BYTE_0 src1_sel:DWORD
	v_accvgpr_write_b32 a122, v5
	v_lshrrev_b16_e32 v5, 13, v0
	v_mul_lo_u16_e32 v0, 48, v5
	v_sub_u16_e32 v0, v128, v0
	v_and_b32_e32 v7, 0xff, v0
	v_lshlrev_b32_e32 v0, 5, v7
	global_load_dwordx4 v[120:123], v0, s[10:11] offset:736
	global_load_dwordx4 v[124:127], v0, s[10:11] offset:752
	v_mul_lo_u16_sdwa v0, v10, s14 dst_sel:DWORD dst_unused:UNUSED_PAD src0_sel:BYTE_0 src1_sel:DWORD
	v_lshrrev_b16_e32 v11, 13, v0
	v_mul_lo_u16_e32 v0, 48, v11
	v_sub_u16_e32 v0, v10, v0
	v_and_b32_e32 v164, 0xff, v0
	v_lshlrev_b32_e32 v0, 5, v164
	global_load_dwordx4 v[128:131], v0, s[10:11] offset:736
	global_load_dwordx4 v[132:135], v0, s[10:11] offset:752
	v_mul_lo_u16_sdwa v0, v136, s14 dst_sel:DWORD dst_unused:UNUSED_PAD src0_sel:BYTE_0 src1_sel:DWORD
	v_lshrrev_b16_e32 v165, 13, v0
	v_mul_lo_u16_e32 v0, 48, v165
	v_sub_u16_e32 v0, v136, v0
	v_and_b32_e32 v166, 0xff, v0
	v_lshlrev_b32_e32 v0, 5, v166
	global_load_dwordx4 v[136:139], v0, s[10:11] offset:736
	global_load_dwordx4 v[140:143], v0, s[10:11] offset:752
	ds_read_b128 v[0:3], v4 offset:5376
	ds_read_b128 v[12:15], v4 offset:6272
	;; [unrolled: 1-line block ×3, first 2 shown]
	v_accvgpr_write_b32 a118, v54
	s_mov_b32 s14, 0xaaab
	v_accvgpr_write_b32 a120, v30
	v_mov_b32_e32 v9, 0x90
	v_cmp_lt_u16_e32 vcc, 47, v6
	v_accvgpr_write_b32 a119, v48
	v_mul_u32_u24_e32 v5, 0x90, v5
	v_cndmask_b32_e32 v9, 0, v9, vcc
	v_add_lshl_u32 v171, v8, v9, 4
	v_add_lshl_u32 v5, v5, v7, 4
	v_accvgpr_write_b32 a136, v5
	v_accvgpr_write_b32 a123, v171
	v_cmp_gt_u16_e32 vcc, 32, v6
	s_waitcnt vmcnt(7) lgkmcnt(2)
	v_mul_f64 v[20:21], v[2:3], v[114:115]
	v_mul_f64 v[54:55], v[0:1], v[114:115]
	v_fma_f64 v[52:53], v[0:1], v[112:113], -v[20:21]
	v_fmac_f64_e32 v[54:55], v[2:3], v[112:113]
	ds_read_b128 v[0:3], v4 offset:11648
	s_waitcnt vmcnt(6) lgkmcnt(1)
	v_mul_f64 v[20:21], v[18:19], v[118:119]
	v_fma_f64 v[56:57], v[16:17], v[116:117], -v[20:21]
	v_mul_f64 v[58:59], v[16:17], v[118:119]
	s_waitcnt vmcnt(5)
	v_mul_f64 v[16:17], v[14:15], v[122:123]
	v_mul_f64 v[42:43], v[12:13], v[122:123]
	v_fma_f64 v[38:39], v[12:13], v[120:121], -v[16:17]
	v_fmac_f64_e32 v[42:43], v[14:15], v[120:121]
	ds_read_b128 v[12:15], v4 offset:7168
	s_waitcnt vmcnt(4) lgkmcnt(1)
	v_mul_f64 v[16:17], v[2:3], v[126:127]
	v_fmac_f64_e32 v[58:59], v[18:19], v[116:117]
	v_fma_f64 v[46:47], v[0:1], v[124:125], -v[16:17]
	v_mul_f64 v[50:51], v[0:1], v[126:127]
	ds_read_b128 v[16:19], v4 offset:12544
	v_fmac_f64_e32 v[50:51], v[2:3], v[124:125]
	ds_read_b128 v[0:3], v4 offset:8064
	s_waitcnt vmcnt(3) lgkmcnt(2)
	v_mul_f64 v[20:21], v[14:15], v[130:131]
	v_fma_f64 v[24:25], v[12:13], v[128:129], -v[20:21]
	ds_read_b128 v[20:23], v4 offset:13440
	v_mul_f64 v[28:29], v[12:13], v[130:131]
	s_waitcnt vmcnt(2) lgkmcnt(2)
	v_mul_f64 v[12:13], v[18:19], v[134:135]
	v_fma_f64 v[32:33], v[16:17], v[132:133], -v[12:13]
	s_waitcnt vmcnt(1) lgkmcnt(1)
	v_mul_f64 v[12:13], v[2:3], v[138:139]
	v_fmac_f64_e32 v[28:29], v[14:15], v[128:129]
	v_fma_f64 v[12:13], v[0:1], v[136:137], -v[12:13]
	v_mul_f64 v[14:15], v[0:1], v[138:139]
	s_waitcnt vmcnt(0) lgkmcnt(0)
	v_mul_f64 v[0:1], v[22:23], v[142:143]
	v_mul_f64 v[34:35], v[16:17], v[134:135]
	v_fma_f64 v[16:17], v[20:21], v[140:141], -v[0:1]
	v_mul_u32_u24_sdwa v0, v144, s14 dst_sel:DWORD dst_unused:UNUSED_PAD src0_sel:WORD_0 src1_sel:DWORD
	v_lshrrev_b32_e32 v167, 21, v0
	v_mul_lo_u16_e32 v0, 48, v167
	v_sub_u16_e32 v168, v144, v0
	v_lshlrev_b16_e32 v0, 5, v168
	v_mov_b32_e32 v1, v155
	v_lshl_add_u64 v[0:1], s[10:11], 0, v[0:1]
	global_load_dwordx4 v[144:147], v[0:1], off offset:736
	global_load_dwordx4 v[148:151], v[0:1], off offset:752
	v_fmac_f64_e32 v[14:15], v[2:3], v[136:137]
	ds_read_b128 v[0:3], v4 offset:8960
	ds_read_b128 v[60:63], v4 offset:9856
	v_fmac_f64_e32 v[34:35], v[18:19], v[132:133]
	v_mul_f64 v[18:19], v[20:21], v[142:143]
	v_fmac_f64_e32 v[18:19], v[22:23], v[140:141]
	v_add_f64 v[8:9], v[52:53], v[56:57]
	s_waitcnt vmcnt(1) lgkmcnt(1)
	v_mul_f64 v[20:21], v[2:3], v[146:147]
	v_mul_f64 v[22:23], v[0:1], v[146:147]
	v_fma_f64 v[20:21], v[0:1], v[144:145], -v[20:21]
	v_fmac_f64_e32 v[22:23], v[2:3], v[144:145]
	ds_read_b128 v[0:3], v4 offset:14336
	ds_read_b128 v[64:67], v4 offset:15232
	s_waitcnt vmcnt(0) lgkmcnt(1)
	v_mul_f64 v[26:27], v[2:3], v[150:151]
	v_fma_f64 v[26:27], v[0:1], v[148:149], -v[26:27]
	v_mul_f64 v[30:31], v[0:1], v[150:151]
	v_mul_u32_u24_sdwa v0, v152, s14 dst_sel:DWORD dst_unused:UNUSED_PAD src0_sel:WORD_0 src1_sel:DWORD
	v_lshrrev_b32_e32 v169, 21, v0
	v_mul_lo_u16_e32 v0, 48, v169
	v_sub_u16_e32 v170, v152, v0
	v_lshlrev_b16_e32 v0, 5, v170
	v_mov_b32_e32 v1, v155
	v_lshl_add_u64 v[0:1], s[10:11], 0, v[0:1]
	global_load_dwordx4 v[152:155], v[0:1], off offset:736
	global_load_dwordx4 v[156:159], v[0:1], off offset:752
	v_fmac_f64_e32 v[30:31], v[2:3], v[148:149]
	s_movk_i32 s14, 0x90
	s_waitcnt vmcnt(1)
	v_mul_f64 v[0:1], v[62:63], v[154:155]
	v_fma_f64 v[36:37], v[60:61], v[152:153], -v[0:1]
	v_mul_f64 v[40:41], v[60:61], v[154:155]
	s_waitcnt vmcnt(0) lgkmcnt(0)
	v_mul_f64 v[0:1], v[66:67], v[158:159]
	v_fmac_f64_e32 v[40:41], v[62:63], v[152:153]
	v_fma_f64 v[44:45], v[64:65], v[156:157], -v[0:1]
	ds_read_b128 v[60:63], v4
	ds_read_b128 v[0:3], v4 offset:896
	v_mul_f64 v[48:49], v[64:65], v[158:159]
	v_fmac_f64_e32 v[48:49], v[66:67], v[156:157]
	ds_read_b128 v[68:71], v4 offset:1792
	ds_read_b128 v[160:163], v4 offset:2688
	;; [unrolled: 1-line block ×4, first 2 shown]
	s_waitcnt lgkmcnt(5)
	v_add_f64 v[64:65], v[60:61], v[52:53]
	v_add_f64 v[66:67], v[62:63], v[54:55]
	v_fmac_f64_e32 v[60:61], -0.5, v[8:9]
	v_add_f64 v[8:9], v[54:55], -v[58:59]
	v_add_f64 v[54:55], v[54:55], v[58:59]
	v_add_f64 v[64:65], v[64:65], v[56:57]
	v_fmac_f64_e32 v[62:63], -0.5, v[54:55]
	v_add_f64 v[56:57], v[52:53], -v[56:57]
	v_fma_f64 v[52:53], s[2:3], v[8:9], v[60:61]
	v_fma_f64 v[54:55], s[12:13], v[56:57], v[62:63]
	v_fmac_f64_e32 v[60:61], s[12:13], v[8:9]
	s_waitcnt lgkmcnt(4)
	v_add_f64 v[8:9], v[0:1], v[38:39]
	s_waitcnt lgkmcnt(0)
	; wave barrier
	s_waitcnt lgkmcnt(0)
	ds_write_b128 v171, v[52:55] offset:768
	v_add_f64 v[52:53], v[8:9], v[46:47]
	v_add_f64 v[8:9], v[2:3], v[42:43]
	;; [unrolled: 1-line block ×4, first 2 shown]
	v_fmac_f64_e32 v[0:1], -0.5, v[8:9]
	v_add_f64 v[8:9], v[42:43], -v[50:51]
	v_add_f64 v[42:43], v[42:43], v[50:51]
	v_add_f64 v[66:67], v[66:67], v[58:59]
	v_fmac_f64_e32 v[62:63], s[2:3], v[56:57]
	v_fmac_f64_e32 v[2:3], -0.5, v[42:43]
	v_add_f64 v[38:39], v[38:39], -v[46:47]
	ds_write_b128 v171, v[64:67]
	ds_write_b128 v171, v[60:63] offset:1536
	ds_write_b128 v5, v[52:55]
	v_fma_f64 v[50:51], s[2:3], v[8:9], v[0:1]
	v_fma_f64 v[52:53], s[12:13], v[38:39], v[2:3]
	v_fmac_f64_e32 v[0:1], s[12:13], v[8:9]
	v_fmac_f64_e32 v[2:3], s[2:3], v[38:39]
	ds_write_b128 v5, v[50:53] offset:768
	ds_write_b128 v5, v[0:3] offset:1536
	v_add_f64 v[0:1], v[68:69], v[24:25]
	v_add_f64 v[2:3], v[70:71], v[28:29]
	v_mul_u32_u24_e32 v5, 0x90, v11
	v_add_f64 v[0:1], v[0:1], v[32:33]
	v_add_f64 v[2:3], v[2:3], v[34:35]
	v_add_lshl_u32 v5, v5, v164, 4
	ds_write_b128 v5, v[0:3]
	v_add_f64 v[0:1], v[24:25], v[32:33]
	v_fmac_f64_e32 v[68:69], -0.5, v[0:1]
	v_add_f64 v[0:1], v[28:29], v[34:35]
	v_add_f64 v[8:9], v[28:29], -v[34:35]
	v_fmac_f64_e32 v[70:71], -0.5, v[0:1]
	v_add_f64 v[24:25], v[24:25], -v[32:33]
	v_fma_f64 v[0:1], s[2:3], v[8:9], v[68:69]
	v_fma_f64 v[2:3], s[12:13], v[24:25], v[70:71]
	v_fmac_f64_e32 v[68:69], s[12:13], v[8:9]
	v_fmac_f64_e32 v[70:71], s[2:3], v[24:25]
	ds_write_b128 v5, v[0:3] offset:768
	v_accvgpr_write_b32 a137, v5
	ds_write_b128 v5, v[68:71] offset:1536
	v_add_f64 v[0:1], v[160:161], v[12:13]
	v_add_f64 v[2:3], v[162:163], v[14:15]
	v_mul_u32_u24_e32 v5, 0x90, v165
	v_add_f64 v[0:1], v[0:1], v[16:17]
	v_add_f64 v[2:3], v[2:3], v[18:19]
	v_add_lshl_u32 v5, v5, v166, 4
	ds_write_b128 v5, v[0:3]
	v_add_f64 v[0:1], v[12:13], v[16:17]
	v_fmac_f64_e32 v[160:161], -0.5, v[0:1]
	v_add_f64 v[0:1], v[14:15], v[18:19]
	v_add_f64 v[8:9], v[14:15], -v[18:19]
	v_fmac_f64_e32 v[162:163], -0.5, v[0:1]
	v_add_f64 v[12:13], v[12:13], -v[16:17]
	v_fma_f64 v[0:1], s[2:3], v[8:9], v[160:161]
	v_fma_f64 v[2:3], s[12:13], v[12:13], v[162:163]
	v_fmac_f64_e32 v[160:161], s[12:13], v[8:9]
	v_fmac_f64_e32 v[162:163], s[2:3], v[12:13]
	ds_write_b128 v5, v[0:3] offset:768
	v_accvgpr_write_b32 a142, v5
	ds_write_b128 v5, v[160:163] offset:1536
	v_add_f64 v[0:1], v[232:233], v[20:21]
	v_add_f64 v[2:3], v[234:235], v[22:23]
	v_mad_legacy_u16 v5, v167, s14, v168
	v_add_f64 v[0:1], v[0:1], v[26:27]
	v_add_f64 v[2:3], v[2:3], v[30:31]
	v_lshlrev_b32_e32 v7, 4, v5
	ds_write_b128 v7, v[0:3]
	v_add_f64 v[0:1], v[20:21], v[26:27]
	v_fmac_f64_e32 v[232:233], -0.5, v[0:1]
	v_add_f64 v[0:1], v[22:23], v[30:31]
	v_add_f64 v[8:9], v[22:23], -v[30:31]
	v_fmac_f64_e32 v[234:235], -0.5, v[0:1]
	v_add_f64 v[12:13], v[20:21], -v[26:27]
	v_fma_f64 v[0:1], s[2:3], v[8:9], v[232:233]
	v_fma_f64 v[2:3], s[12:13], v[12:13], v[234:235]
	ds_write_b128 v7, v[0:3] offset:768
	v_add_f64 v[0:1], v[176:177], v[36:37]
	v_add_f64 v[200:201], v[0:1], v[44:45]
	;; [unrolled: 1-line block ×5, first 2 shown]
	v_fmac_f64_e32 v[178:179], -0.5, v[0:1]
	v_add_f64 v[0:1], v[36:37], -v[44:45]
	v_add_f64 v[2:3], v[36:37], v[44:45]
	v_fma_f64 v[254:255], s[12:13], v[0:1], v[178:179]
	v_fmac_f64_e32 v[178:179], s[2:3], v[0:1]
	v_mad_legacy_u16 v0, v169, s14, v170
	v_fmac_f64_e32 v[232:233], s[12:13], v[8:9]
	v_fmac_f64_e32 v[234:235], s[2:3], v[12:13]
	v_fmac_f64_e32 v[176:177], -0.5, v[2:3]
	v_add_f64 v[2:3], v[40:41], -v[48:49]
	v_lshlrev_b32_e32 v5, 4, v0
	v_fma_f64 v[252:253], s[2:3], v[2:3], v[176:177]
	v_fmac_f64_e32 v[176:177], s[12:13], v[2:3]
	ds_write_b128 v7, v[232:235] offset:1536
	ds_write_b128 v5, v[200:203]
	ds_write_b128 v5, v[252:255] offset:768
	ds_write_b128 v5, v[176:179] offset:1536
	s_waitcnt lgkmcnt(0)
	; wave barrier
	s_waitcnt lgkmcnt(0)
	ds_read_b128 v[240:243], v4
	ds_read_b128 v[236:239], v4 offset:896
	ds_read_b128 v[224:227], v4 offset:2304
	;; [unrolled: 1-line block ×13, first 2 shown]
	s_load_dwordx2 s[2:3], s[0:1], 0x38
                                        ; implicit-def: $vgpr0_vgpr1
	s_and_saveexec_b64 s[0:1], vcc
	s_cbranch_execz .LBB0_3
; %bb.2:
	ds_read_b128 v[232:235], v4 offset:1792
	ds_read_b128 v[200:203], v4 offset:4096
	ds_read_b128 v[252:255], v4 offset:6400
	ds_read_b128 v[176:179], v4 offset:8704
	ds_read_b128 v[0:3], v4 offset:11008
	ds_read_b128 v[244:247], v4 offset:13312
	ds_read_b128 v[248:251], v4 offset:15616
.LBB0_3:
	s_or_b64 exec, exec, s[0:1]
	s_movk_i32 s0, 0x60
	v_mov_b64_e32 v[8:9], s[10:11]
	v_mad_u64_u32 v[26:27], s[0:1], v6, s0, v[8:9]
	global_load_dwordx4 v[180:183], v[26:27], off offset:2320
	global_load_dwordx4 v[184:187], v[26:27], off offset:2304
	;; [unrolled: 1-line block ×4, first 2 shown]
	s_mov_b64 s[0:1], 0x1500
	v_lshl_add_u64 v[42:43], v[26:27], 0, s[0:1]
	v_subrev_u32_e32 v11, 32, v6
	v_cndmask_b32_e32 v10, v11, v10, vcc
	v_mul_hi_i32_i24_e32 v11, 0x60, v10
	v_mul_i32_i24_e32 v10, 0x60, v10
	v_lshl_add_u64 v[68:69], s[10:11], 0, v[10:11]
	s_mov_b32 s10, 0x37e14327
	s_mov_b32 s0, 0x36b3c0b5
	;; [unrolled: 1-line block ×20, first 2 shown]
	s_waitcnt vmcnt(3) lgkmcnt(0)
	v_mul_f64 v[22:23], v[194:195], v[182:183]
	s_waitcnt vmcnt(2)
	v_mul_f64 v[18:19], v[206:207], v[186:187]
	v_mul_f64 v[20:21], v[204:205], v[186:187]
	;; [unrolled: 1-line block ×3, first 2 shown]
	v_fma_f64 v[18:19], v[204:205], v[184:185], -v[18:19]
	v_fmac_f64_e32 v[20:21], v[206:207], v[184:185]
	v_fma_f64 v[22:23], v[192:193], v[180:181], -v[22:23]
	v_fmac_f64_e32 v[24:25], v[194:195], v[180:181]
	global_load_dwordx4 v[192:195], v[26:27], off offset:2352
	global_load_dwordx4 v[204:207], v[26:27], off offset:2336
	s_waitcnt vmcnt(2)
	v_mul_f64 v[8:9], v[226:227], v[198:199]
	v_fma_f64 v[12:13], v[224:225], v[196:197], -v[8:9]
	v_mul_f64 v[14:15], v[224:225], v[198:199]
	v_mul_f64 v[8:9], v[218:219], v[190:191]
	;; [unrolled: 1-line block ×3, first 2 shown]
	v_fmac_f64_e32 v[14:15], v[226:227], v[196:197]
	v_fma_f64 v[8:9], v[216:217], v[188:189], -v[8:9]
	v_fmac_f64_e32 v[16:17], v[218:219], v[188:189]
	s_waitcnt vmcnt(1)
	v_mul_f64 v[58:59], v[208:209], v[194:195]
	s_waitcnt vmcnt(0)
	v_mul_f64 v[28:29], v[214:215], v[206:207]
	v_fma_f64 v[52:53], v[212:213], v[204:205], -v[28:29]
	v_mul_f64 v[54:55], v[212:213], v[206:207]
	v_mul_f64 v[28:29], v[210:211], v[194:195]
	v_fmac_f64_e32 v[54:55], v[214:215], v[204:205]
	v_fma_f64 v[56:57], v[208:209], v[192:193], -v[28:29]
	v_fmac_f64_e32 v[58:59], v[210:211], v[192:193]
	global_load_dwordx4 v[208:211], v[42:43], off offset:2320
	global_load_dwordx4 v[212:215], v[42:43], off offset:2304
	;; [unrolled: 1-line block ×4, first 2 shown]
	s_waitcnt vmcnt(3)
	v_mul_f64 v[38:39], v[170:171], v[210:211]
	v_fma_f64 v[38:39], v[168:169], v[208:209], -v[38:39]
	s_waitcnt vmcnt(1)
	v_mul_f64 v[30:31], v[222:223], v[218:219]
	s_waitcnt vmcnt(0)
	v_mul_f64 v[26:27], v[230:231], v[226:227]
	v_mul_f64 v[28:29], v[228:229], v[226:227]
	;; [unrolled: 1-line block ×3, first 2 shown]
	v_fma_f64 v[26:27], v[228:229], v[224:225], -v[26:27]
	v_fmac_f64_e32 v[28:29], v[230:231], v[224:225]
	v_fma_f64 v[30:31], v[220:221], v[216:217], -v[30:31]
	v_fmac_f64_e32 v[32:33], v[222:223], v[216:217]
	global_load_dwordx4 v[220:223], v[42:43], off offset:2352
	global_load_dwordx4 v[228:231], v[42:43], off offset:2336
	v_mul_f64 v[40:41], v[168:169], v[210:211]
	v_mul_f64 v[34:35], v[174:175], v[214:215]
	v_fmac_f64_e32 v[40:41], v[170:171], v[208:209]
	v_fma_f64 v[34:35], v[172:173], v[212:213], -v[34:35]
	v_mul_f64 v[36:37], v[172:173], v[214:215]
	v_fmac_f64_e32 v[36:37], v[174:175], v[212:213]
	s_waitcnt vmcnt(1)
	v_mul_f64 v[66:67], v[160:161], v[222:223]
	s_waitcnt vmcnt(0)
	v_mul_f64 v[42:43], v[166:167], v[230:231]
	v_fma_f64 v[60:61], v[164:165], v[228:229], -v[42:43]
	v_mul_f64 v[62:63], v[164:165], v[230:231]
	v_mul_f64 v[42:43], v[162:163], v[222:223]
	v_fmac_f64_e32 v[62:63], v[166:167], v[228:229]
	v_fma_f64 v[64:65], v[160:161], v[220:221], -v[42:43]
	v_fmac_f64_e32 v[66:67], v[162:163], v[220:221]
	global_load_dwordx4 v[160:163], v[68:69], off offset:2320
	global_load_dwordx4 v[164:167], v[68:69], off offset:2304
	;; [unrolled: 1-line block ×4, first 2 shown]
	s_waitcnt vmcnt(3)
	v_accvgpr_write_b32 a124, v160
	s_waitcnt vmcnt(2)
	v_accvgpr_write_b32 a128, v164
	;; [unrolled: 2-line block ×3, first 2 shown]
	s_waitcnt vmcnt(0)
	v_mul_f64 v[10:11], v[202:203], v[46:47]
	v_mul_f64 v[42:43], v[200:201], v[46:47]
	v_accvgpr_write_b32 a141, v47
	v_fma_f64 v[10:11], v[200:201], v[44:45], -v[10:11]
	v_accvgpr_write_b32 a140, v46
	v_accvgpr_write_b32 a139, v45
	;; [unrolled: 1-line block ×3, first 2 shown]
	v_fmac_f64_e32 v[42:43], v[202:203], v[44:45]
	v_mul_f64 v[44:45], v[254:255], v[50:51]
	v_mul_f64 v[46:47], v[252:253], v[50:51]
	v_fma_f64 v[44:45], v[252:253], v[48:49], -v[44:45]
	v_accvgpr_write_b32 a134, v50
	v_accvgpr_write_b32 a133, v49
	;; [unrolled: 1-line block ×3, first 2 shown]
	v_fmac_f64_e32 v[46:47], v[254:255], v[48:49]
	v_mul_f64 v[48:49], v[178:179], v[166:167]
	v_mul_f64 v[254:255], v[176:177], v[166:167]
	v_fma_f64 v[252:253], v[176:177], v[164:165], -v[48:49]
	v_fmac_f64_e32 v[254:255], v[178:179], v[164:165]
	global_load_dwordx4 v[176:179], v[68:69], off offset:2352
	global_load_dwordx4 v[200:203], v[68:69], off offset:2336
	v_mul_f64 v[48:49], v[2:3], v[162:163]
	v_fma_f64 v[48:49], v[0:1], v[160:161], -v[48:49]
	v_mul_f64 v[50:51], v[0:1], v[162:163]
	v_fmac_f64_e32 v[50:51], v[2:3], v[160:161]
	v_add_f64 v[2:3], v[14:15], v[58:59]
	v_add_f64 v[14:15], v[14:15], -v[58:59]
	v_add_f64 v[58:59], v[16:17], v[54:55]
	v_accvgpr_write_b32 a129, v165
	v_accvgpr_write_b32 a130, v166
	;; [unrolled: 1-line block ×6, first 2 shown]
	v_add_f64 v[16:17], v[16:17], -v[54:55]
	v_add_f64 v[54:55], v[20:21], v[24:25]
	v_add_f64 v[20:21], v[24:25], -v[20:21]
	v_add_f64 v[24:25], v[58:59], v[2:3]
	v_add_f64 v[162:163], v[58:59], -v[2:3]
	v_add_f64 v[166:167], v[2:3], -v[54:55]
	v_add_f64 v[2:3], v[20:21], v[16:17]
	v_add_f64 v[24:25], v[54:55], v[24:25]
	v_add_f64 v[58:59], v[54:55], -v[58:59]
	v_add_f64 v[170:171], v[20:21], -v[16:17]
	;; [unrolled: 1-line block ×4, first 2 shown]
	v_add_f64 v[14:15], v[2:3], v[14:15]
	v_add_f64 v[2:3], v[242:243], v[24:25]
	v_mul_f64 v[54:55], v[166:167], s[10:11]
	v_mul_f64 v[166:167], v[58:59], s[0:1]
	;; [unrolled: 1-line block ×4, first 2 shown]
	v_fma_f64 v[16:17], v[16:17], s[12:13], -v[170:171]
	v_fmac_f64_e32 v[170:171], s[22:23], v[20:21]
	v_fma_f64 v[20:21], v[20:21], s[26:27], -v[174:175]
	v_fmac_f64_e32 v[20:21], s[24:25], v[14:15]
	v_fmac_f64_e32 v[170:171], s[24:25], v[14:15]
	;; [unrolled: 1-line block ×3, first 2 shown]
	v_add_f64 v[14:15], v[26:27], -v[64:65]
	s_waitcnt vmcnt(0)
	v_mul_f64 v[0:1], v[246:247], v[202:203]
	v_fma_f64 v[68:69], v[244:245], v[200:201], -v[0:1]
	v_mul_f64 v[0:1], v[250:251], v[178:179]
	v_mul_f64 v[70:71], v[244:245], v[202:203]
	v_fma_f64 v[244:245], v[248:249], v[176:177], -v[0:1]
	v_add_f64 v[0:1], v[12:13], v[56:57]
	v_add_f64 v[12:13], v[12:13], -v[56:57]
	v_add_f64 v[56:57], v[8:9], v[52:53]
	v_add_f64 v[8:9], v[8:9], -v[52:53]
	v_add_f64 v[52:53], v[18:19], v[22:23]
	v_add_f64 v[18:19], v[22:23], -v[18:19]
	v_add_f64 v[22:23], v[56:57], v[0:1]
	v_add_f64 v[160:161], v[56:57], -v[0:1]
	v_add_f64 v[164:165], v[0:1], -v[52:53]
	v_add_f64 v[0:1], v[18:19], v[8:9]
	v_add_f64 v[22:23], v[52:53], v[22:23]
	v_add_f64 v[168:169], v[18:19], -v[8:9]
	v_add_f64 v[18:19], v[12:13], -v[18:19]
	;; [unrolled: 1-line block ×3, first 2 shown]
	v_add_f64 v[12:13], v[0:1], v[12:13]
	v_add_f64 v[0:1], v[240:241], v[22:23]
	v_add_f64 v[56:57], v[52:53], -v[56:57]
	v_mov_b64_e32 v[240:241], v[0:1]
	v_mul_f64 v[52:53], v[164:165], s[10:11]
	v_mul_f64 v[164:165], v[56:57], s[0:1]
	;; [unrolled: 1-line block ×4, first 2 shown]
	v_fmac_f64_e32 v[240:241], s[16:17], v[22:23]
	v_mov_b64_e32 v[22:23], v[2:3]
	v_fmac_f64_e32 v[22:23], s[16:17], v[24:25]
	v_fma_f64 v[24:25], v[160:161], s[18:19], -v[164:165]
	v_fma_f64 v[164:165], v[162:163], s[18:19], -v[166:167]
	;; [unrolled: 1-line block ×3, first 2 shown]
	v_fmac_f64_e32 v[52:53], s[0:1], v[56:57]
	v_fma_f64 v[56:57], v[162:163], s[20:21], -v[54:55]
	v_fmac_f64_e32 v[54:55], s[0:1], v[58:59]
	v_fma_f64 v[8:9], v[8:9], s[12:13], -v[168:169]
	;; [unrolled: 2-line block ×3, first 2 shown]
	v_fmac_f64_e32 v[70:71], v[246:247], v[200:201]
	v_mul_f64 v[246:247], v[248:249], v[178:179]
	v_add_f64 v[172:173], v[54:55], v[22:23]
	v_add_f64 v[162:163], v[164:165], v[22:23]
	;; [unrolled: 1-line block ×3, first 2 shown]
	v_fmac_f64_e32 v[8:9], s[24:25], v[12:13]
	v_fmac_f64_e32 v[18:19], s[24:25], v[12:13]
	;; [unrolled: 1-line block ×3, first 2 shown]
	v_add_f64 v[160:161], v[160:161], v[240:241]
	v_add_f64 v[58:59], v[22:23], -v[18:19]
	v_add_f64 v[250:251], v[8:9], v[162:163]
	v_add_f64 v[242:243], v[162:163], -v[8:9]
	v_add_f64 v[162:163], v[18:19], v[22:23]
	v_add_f64 v[8:9], v[26:27], v[64:65]
	;; [unrolled: 1-line block ×4, first 2 shown]
	v_fmac_f64_e32 v[168:169], s[24:25], v[12:13]
	v_add_f64 v[56:57], v[20:21], v[160:161]
	v_add_f64 v[160:161], v[160:161], -v[20:21]
	v_add_f64 v[12:13], v[28:29], v[66:67]
	v_add_f64 v[20:21], v[32:33], v[62:63]
	v_add_f64 v[22:23], v[30:31], -v[60:61]
	v_add_f64 v[26:27], v[34:35], v[38:39]
	v_add_f64 v[30:31], v[38:39], -v[34:35]
	v_add_f64 v[34:35], v[18:19], v[8:9]
	v_add_f64 v[166:167], v[52:53], v[240:241]
	v_add_f64 v[248:249], v[24:25], -v[16:17]
	v_add_f64 v[240:241], v[16:17], v[24:25]
	v_add_f64 v[16:17], v[28:29], -v[66:67]
	v_add_f64 v[24:25], v[32:33], -v[62:63]
	v_add_f64 v[28:29], v[36:37], v[40:41]
	v_add_f64 v[32:33], v[40:41], -v[36:37]
	v_add_f64 v[36:37], v[20:21], v[12:13]
	v_add_f64 v[40:41], v[18:19], -v[8:9]
	v_add_f64 v[8:9], v[8:9], -v[26:27]
	;; [unrolled: 1-line block ×3, first 2 shown]
	v_add_f64 v[26:27], v[26:27], v[34:35]
	v_add_f64 v[60:61], v[20:21], -v[12:13]
	v_add_f64 v[12:13], v[12:13], -v[28:29]
	;; [unrolled: 1-line block ×3, first 2 shown]
	v_add_f64 v[38:39], v[30:31], v[22:23]
	v_add_f64 v[28:29], v[28:29], v[36:37]
	v_add_f64 v[36:37], v[236:237], v[26:27]
	v_add_f64 v[52:53], v[170:171], v[166:167]
	v_add_f64 v[54:55], v[172:173], -v[168:169]
	v_add_f64 v[164:165], v[166:167], -v[170:171]
	v_add_f64 v[166:167], v[168:169], v[172:173]
	v_add_f64 v[64:65], v[30:31], -v[22:23]
	v_add_f64 v[66:67], v[32:33], -v[24:25]
	;; [unrolled: 1-line block ×4, first 2 shown]
	v_add_f64 v[14:15], v[38:39], v[14:15]
	v_add_f64 v[38:39], v[238:239], v[28:29]
	v_mov_b64_e32 v[168:169], v[36:37]
	v_add_f64 v[62:63], v[32:33], v[24:25]
	v_add_f64 v[32:33], v[16:17], -v[32:33]
	v_add_f64 v[24:25], v[24:25], -v[16:17]
	v_mul_f64 v[8:9], v[8:9], s[10:11]
	v_mul_f64 v[12:13], v[12:13], s[10:11]
	;; [unrolled: 1-line block ×6, first 2 shown]
	v_fmac_f64_e32 v[168:169], s[16:17], v[26:27]
	v_mov_b64_e32 v[26:27], v[38:39]
	v_add_f64 v[16:17], v[62:63], v[16:17]
	v_mul_f64 v[62:63], v[20:21], s[0:1]
	v_mul_f64 v[66:67], v[24:25], s[12:13]
	v_fmac_f64_e32 v[26:27], s[16:17], v[28:29]
	v_fma_f64 v[28:29], v[40:41], s[18:19], -v[34:35]
	v_fma_f64 v[40:41], v[40:41], s[20:21], -v[8:9]
	v_fmac_f64_e32 v[8:9], s[0:1], v[18:19]
	v_fma_f64 v[18:19], v[60:61], s[20:21], -v[12:13]
	v_fmac_f64_e32 v[12:13], s[0:1], v[20:21]
	;; [unrolled: 2-line block ×4, first 2 shown]
	v_fma_f64 v[24:25], v[30:31], s[26:27], -v[64:65]
	v_fma_f64 v[34:35], v[60:61], s[18:19], -v[62:63]
	;; [unrolled: 1-line block ×3, first 2 shown]
	v_add_f64 v[8:9], v[8:9], v[168:169]
	v_add_f64 v[12:13], v[12:13], v[26:27]
	;; [unrolled: 1-line block ×3, first 2 shown]
	v_fmac_f64_e32 v[174:175], s[24:25], v[14:15]
	v_fmac_f64_e32 v[172:173], s[24:25], v[16:17]
	;; [unrolled: 1-line block ×3, first 2 shown]
	v_add_f64 v[28:29], v[28:29], v[168:169]
	v_add_f64 v[34:35], v[34:35], v[26:27]
	;; [unrolled: 1-line block ×3, first 2 shown]
	v_fmac_f64_e32 v[20:21], s[24:25], v[14:15]
	v_fmac_f64_e32 v[22:23], s[24:25], v[16:17]
	;; [unrolled: 1-line block ×3, first 2 shown]
	v_add_f64 v[60:61], v[172:173], v[8:9]
	v_add_f64 v[62:63], v[12:13], -v[174:175]
	v_add_f64 v[66:67], v[18:19], -v[24:25]
	v_add_f64 v[170:171], v[24:25], v[18:19]
	v_add_f64 v[172:173], v[8:9], -v[172:173]
	v_add_f64 v[174:175], v[174:175], v[12:13]
	v_add_f64 v[8:9], v[10:11], v[244:245]
	;; [unrolled: 1-line block ×6, first 2 shown]
	v_add_f64 v[236:237], v[28:29], -v[22:23]
	v_add_f64 v[238:239], v[20:21], v[34:35]
	v_add_f64 v[32:33], v[22:23], v[28:29]
	v_add_f64 v[34:35], v[34:35], -v[20:21]
	v_add_f64 v[168:169], v[40:41], -v[30:31]
	;; [unrolled: 1-line block ×6, first 2 shown]
	v_add_f64 v[24:25], v[252:253], v[48:49]
	v_add_f64 v[26:27], v[254:255], v[50:51]
	v_add_f64 v[28:29], v[48:49], -v[252:253]
	v_add_f64 v[30:31], v[50:51], -v[254:255]
	v_add_f64 v[40:41], v[16:17], v[8:9]
	v_add_f64 v[42:43], v[18:19], v[12:13]
	v_add_f64 v[44:45], v[16:17], -v[8:9]
	v_add_f64 v[46:47], v[18:19], -v[12:13]
	;; [unrolled: 1-line block ×6, first 2 shown]
	v_add_f64 v[48:49], v[28:29], v[20:21]
	v_add_f64 v[50:51], v[30:31], v[22:23]
	v_add_f64 v[68:69], v[28:29], -v[20:21]
	v_add_f64 v[70:71], v[30:31], -v[22:23]
	v_add_f64 v[20:21], v[20:21], -v[10:11]
	v_add_f64 v[252:253], v[22:23], -v[14:15]
	v_add_f64 v[22:23], v[24:25], v[40:41]
	v_add_f64 v[24:25], v[26:27], v[42:43]
	v_add_f64 v[28:29], v[10:11], -v[28:29]
	v_add_f64 v[30:31], v[14:15], -v[30:31]
	v_add_f64 v[40:41], v[48:49], v[10:11]
	v_add_f64 v[42:43], v[50:51], v[14:15]
	;; [unrolled: 1-line block ×4, first 2 shown]
	v_mul_f64 v[10:11], v[8:9], s[10:11]
	v_mul_f64 v[14:15], v[12:13], s[10:11]
	;; [unrolled: 1-line block ×8, first 2 shown]
	v_fma_f64 v[70:71], s[16:17], v[22:23], v[244:245]
	v_fma_f64 v[232:233], s[16:17], v[24:25], v[246:247]
	;; [unrolled: 1-line block ×3, first 2 shown]
	v_fma_f64 v[234:235], v[44:45], s[18:19], -v[12:13]
	v_fma_f64 v[254:255], v[46:47], s[18:19], -v[26:27]
	;; [unrolled: 1-line block ×4, first 2 shown]
	v_fmac_f64_e32 v[14:15], s[0:1], v[18:19]
	v_fma_f64 v[10:11], s[22:23], v[28:29], v[48:49]
	v_fma_f64 v[22:23], v[20:21], s[12:13], -v[48:49]
	v_fma_f64 v[18:19], v[252:253], s[12:13], -v[8:9]
	v_fmac_f64_e32 v[8:9], s[22:23], v[30:31]
	v_fma_f64 v[20:21], v[28:29], s[26:27], -v[50:51]
	v_fma_f64 v[16:17], v[30:31], s[26:27], -v[68:69]
	v_add_f64 v[12:13], v[24:25], v[70:71]
	v_add_f64 v[14:15], v[14:15], v[232:233]
	;; [unrolled: 1-line block ×6, first 2 shown]
	v_fmac_f64_e32 v[10:11], s[24:25], v[40:41]
	v_fmac_f64_e32 v[8:9], s[24:25], v[42:43]
	v_fmac_f64_e32 v[22:23], s[24:25], v[40:41]
	v_fmac_f64_e32 v[18:19], s[24:25], v[42:43]
	v_fmac_f64_e32 v[20:21], s[24:25], v[40:41]
	v_fmac_f64_e32 v[16:17], s[24:25], v[42:43]
	v_add_f64 v[232:233], v[18:19], v[26:27]
	v_add_f64 v[234:235], v[30:31], -v[22:23]
	v_add_f64 v[40:41], v[24:25], -v[16:17]
	v_add_f64 v[42:43], v[20:21], v[28:29]
	v_add_f64 v[44:45], v[12:13], -v[8:9]
	v_add_f64 v[46:47], v[10:11], v[14:15]
	ds_write_b128 v4, v[0:3]
	ds_write_b128 v4, v[52:55] offset:2304
	ds_write_b128 v4, v[56:59] offset:4608
	;; [unrolled: 1-line block ×13, first 2 shown]
	s_and_saveexec_b64 s[0:1], vcc
	s_cbranch_execz .LBB0_5
; %bb.4:
	v_add_f64 v[2:3], v[22:23], v[30:31]
	v_add_f64 v[0:1], v[26:27], -v[18:19]
	v_add_f64 v[18:19], v[28:29], -v[20:21]
	v_add_f64 v[16:17], v[16:17], v[24:25]
	v_add_f64 v[10:11], v[14:15], -v[10:11]
	v_add_f64 v[8:9], v[8:9], v[12:13]
	ds_write_b128 v4, v[244:247] offset:1792
	ds_write_b128 v4, v[8:11] offset:4096
	;; [unrolled: 1-line block ×7, first 2 shown]
.LBB0_5:
	s_or_b64 exec, exec, s[0:1]
	s_add_u32 s8, s8, 0x3f00
	s_addc_u32 s9, s9, 0
	v_lshlrev_b32_e32 v8, 4, v6
	s_waitcnt lgkmcnt(0)
	; wave barrier
	s_waitcnt lgkmcnt(0)
	global_load_dwordx4 v[14:17], v8, s[8:9]
	ds_read_b128 v[10:13], v4
	v_mov_b32_e32 v9, 0
	v_lshl_add_u64 v[2:3], s[8:9], 0, v[8:9]
	s_movk_i32 s0, 0x1000
	v_accvgpr_read_b32 v172, a39
	s_waitcnt vmcnt(0) lgkmcnt(0)
	v_mul_f64 v[0:1], v[12:13], v[16:17]
	v_fma_f64 v[18:19], v[10:11], v[14:15], -v[0:1]
	v_add_co_u32_e64 v0, s[0:1], s0, v2
	v_mul_f64 v[20:21], v[10:11], v[16:17]
	s_nop 0
	v_addc_co_u32_e64 v1, s[0:1], 0, v3, s[0:1]
	v_fmac_f64_e32 v[20:21], v[12:13], v[14:15]
	global_load_dwordx4 v[14:17], v[0:1], off offset:3968
	ds_read_b128 v[10:13], v4 offset:8064
	ds_write_b128 v4, v[18:21]
	s_movk_i32 s0, 0x2000
	s_waitcnt vmcnt(0) lgkmcnt(1)
	v_mul_f64 v[18:19], v[12:13], v[16:17]
	v_mul_f64 v[20:21], v[10:11], v[16:17]
	v_fma_f64 v[18:19], v[10:11], v[14:15], -v[18:19]
	v_fmac_f64_e32 v[20:21], v[12:13], v[14:15]
	global_load_dwordx4 v[14:17], v8, s[8:9] offset:896
	ds_read_b128 v[10:13], v4 offset:896
	ds_write_b128 v4, v[18:21] offset:8064
	s_waitcnt vmcnt(0) lgkmcnt(1)
	v_mul_f64 v[18:19], v[12:13], v[16:17]
	v_fma_f64 v[18:19], v[10:11], v[14:15], -v[18:19]
	v_mul_f64 v[20:21], v[10:11], v[16:17]
	v_add_co_u32_e64 v10, s[0:1], s0, v2
	v_fmac_f64_e32 v[20:21], v[12:13], v[14:15]
	s_nop 0
	v_addc_co_u32_e64 v11, s[0:1], 0, v3, s[0:1]
	ds_write_b128 v4, v[18:21] offset:896
	global_load_dwordx4 v[16:19], v[10:11], off offset:768
	ds_read_b128 v[12:15], v4 offset:8960
	s_movk_i32 s0, 0x3000
	s_waitcnt vmcnt(0) lgkmcnt(0)
	v_mul_f64 v[20:21], v[14:15], v[18:19]
	v_mul_f64 v[22:23], v[12:13], v[18:19]
	v_fma_f64 v[20:21], v[12:13], v[16:17], -v[20:21]
	v_fmac_f64_e32 v[22:23], v[14:15], v[16:17]
	global_load_dwordx4 v[16:19], v8, s[8:9] offset:1792
	ds_read_b128 v[12:15], v4 offset:1792
	ds_write_b128 v4, v[20:23] offset:8960
	s_waitcnt vmcnt(0) lgkmcnt(1)
	v_mul_f64 v[20:21], v[14:15], v[18:19]
	v_mul_f64 v[22:23], v[12:13], v[18:19]
	v_fma_f64 v[20:21], v[12:13], v[16:17], -v[20:21]
	v_fmac_f64_e32 v[22:23], v[14:15], v[16:17]
	global_load_dwordx4 v[16:19], v[10:11], off offset:1664
	ds_read_b128 v[12:15], v4 offset:9856
	ds_write_b128 v4, v[20:23] offset:1792
	s_waitcnt vmcnt(0) lgkmcnt(1)
	v_mul_f64 v[20:21], v[14:15], v[18:19]
	v_mul_f64 v[22:23], v[12:13], v[18:19]
	v_fma_f64 v[20:21], v[12:13], v[16:17], -v[20:21]
	v_fmac_f64_e32 v[22:23], v[14:15], v[16:17]
	global_load_dwordx4 v[16:19], v8, s[8:9] offset:2688
	ds_read_b128 v[12:15], v4 offset:2688
	ds_write_b128 v4, v[20:23] offset:9856
	s_waitcnt vmcnt(0) lgkmcnt(1)
	v_mul_f64 v[20:21], v[14:15], v[18:19]
	v_mul_f64 v[22:23], v[12:13], v[18:19]
	v_fma_f64 v[20:21], v[12:13], v[16:17], -v[20:21]
	v_fmac_f64_e32 v[22:23], v[14:15], v[16:17]
	global_load_dwordx4 v[16:19], v[10:11], off offset:2560
	ds_read_b128 v[12:15], v4 offset:10752
	ds_write_b128 v4, v[20:23] offset:2688
	s_waitcnt vmcnt(0) lgkmcnt(1)
	v_mul_f64 v[20:21], v[14:15], v[18:19]
	v_mul_f64 v[22:23], v[12:13], v[18:19]
	v_fma_f64 v[20:21], v[12:13], v[16:17], -v[20:21]
	v_fmac_f64_e32 v[22:23], v[14:15], v[16:17]
	global_load_dwordx4 v[16:19], v8, s[8:9] offset:3584
	ds_read_b128 v[12:15], v4 offset:3584
	ds_write_b128 v4, v[20:23] offset:10752
	s_waitcnt vmcnt(0) lgkmcnt(1)
	v_mul_f64 v[8:9], v[14:15], v[18:19]
	v_fma_f64 v[20:21], v[12:13], v[16:17], -v[8:9]
	global_load_dwordx4 v[8:11], v[10:11], off offset:3456
	v_mul_f64 v[22:23], v[12:13], v[18:19]
	v_fmac_f64_e32 v[22:23], v[14:15], v[16:17]
	ds_read_b128 v[12:15], v4 offset:11648
	ds_write_b128 v4, v[20:23] offset:3584
	s_waitcnt vmcnt(0) lgkmcnt(1)
	v_mul_f64 v[16:17], v[14:15], v[10:11]
	v_mul_f64 v[18:19], v[12:13], v[10:11]
	v_fma_f64 v[16:17], v[12:13], v[8:9], -v[16:17]
	v_fmac_f64_e32 v[18:19], v[14:15], v[8:9]
	global_load_dwordx4 v[12:15], v[0:1], off offset:384
	ds_read_b128 v[8:11], v4 offset:4480
	ds_write_b128 v4, v[16:19] offset:11648
	s_waitcnt vmcnt(0) lgkmcnt(1)
	v_mul_f64 v[16:17], v[10:11], v[14:15]
	v_fma_f64 v[16:17], v[8:9], v[12:13], -v[16:17]
	v_mul_f64 v[18:19], v[8:9], v[14:15]
	v_add_co_u32_e64 v8, s[0:1], s0, v2
	v_fmac_f64_e32 v[18:19], v[10:11], v[12:13]
	s_nop 0
	v_addc_co_u32_e64 v9, s[0:1], 0, v3, s[0:1]
	ds_write_b128 v4, v[16:19] offset:4480
	global_load_dwordx4 v[14:17], v[8:9], off offset:256
	ds_read_b128 v[10:13], v4 offset:12544
	s_mov_b32 s0, 0xe8584caa
	s_mov_b32 s1, 0xbfebb67a
	global_load_dwordx4 v[244:247], v[8:9], off offset:2944
	s_waitcnt vmcnt(1) lgkmcnt(0)
	v_mul_f64 v[2:3], v[12:13], v[16:17]
	v_mul_f64 v[20:21], v[10:11], v[16:17]
	v_fma_f64 v[18:19], v[10:11], v[14:15], -v[2:3]
	v_fmac_f64_e32 v[20:21], v[12:13], v[14:15]
	global_load_dwordx4 v[14:17], v[0:1], off offset:1280
	ds_read_b128 v[10:13], v4 offset:5376
	ds_write_b128 v4, v[18:21] offset:12544
	s_waitcnt vmcnt(0) lgkmcnt(1)
	v_mul_f64 v[2:3], v[12:13], v[16:17]
	v_mul_f64 v[20:21], v[10:11], v[16:17]
	v_fma_f64 v[18:19], v[10:11], v[14:15], -v[2:3]
	v_fmac_f64_e32 v[20:21], v[12:13], v[14:15]
	global_load_dwordx4 v[14:17], v[8:9], off offset:1152
	ds_read_b128 v[10:13], v4 offset:13440
	ds_write_b128 v4, v[18:21] offset:5376
	s_waitcnt vmcnt(0) lgkmcnt(1)
	v_mul_f64 v[2:3], v[12:13], v[16:17]
	v_fma_f64 v[18:19], v[10:11], v[14:15], -v[2:3]
	global_load_dwordx4 v[0:3], v[0:1], off offset:2176
	v_mul_f64 v[20:21], v[10:11], v[16:17]
	v_fmac_f64_e32 v[20:21], v[12:13], v[14:15]
	ds_read_b128 v[10:13], v4 offset:6272
	ds_write_b128 v4, v[18:21] offset:13440
	s_waitcnt vmcnt(0) lgkmcnt(1)
	v_mul_f64 v[14:15], v[12:13], v[2:3]
	v_fma_f64 v[14:15], v[10:11], v[0:1], -v[14:15]
	v_mul_f64 v[16:17], v[10:11], v[2:3]
	v_accvgpr_read_b32 v10, a111
	v_fmac_f64_e32 v[16:17], v[12:13], v[0:1]
	global_load_dwordx4 v[10:13], v10, s[8:9]
	ds_read_b128 v[0:3], v4 offset:14336
	ds_write_b128 v4, v[14:17] offset:6272
	s_waitcnt vmcnt(0) lgkmcnt(1)
	v_mul_f64 v[14:15], v[2:3], v[12:13]
	v_mul_f64 v[16:17], v[0:1], v[12:13]
	v_fma_f64 v[14:15], v[0:1], v[10:11], -v[14:15]
	v_fmac_f64_e32 v[16:17], v[2:3], v[10:11]
	v_accvgpr_read_b32 v10, a114
	global_load_dwordx4 v[10:13], v10, s[8:9]
	ds_read_b128 v[0:3], v4 offset:7168
	ds_write_b128 v4, v[14:17] offset:14336
	s_mov_b32 s9, 0x3febb67a
	s_mov_b32 s8, s0
	s_waitcnt vmcnt(0) lgkmcnt(1)
	v_mul_f64 v[14:15], v[2:3], v[12:13]
	v_mul_f64 v[16:17], v[0:1], v[12:13]
	v_fma_f64 v[14:15], v[0:1], v[10:11], -v[14:15]
	v_fmac_f64_e32 v[16:17], v[2:3], v[10:11]
	ds_read_b128 v[0:3], v4 offset:15232
	ds_write_b128 v4, v[14:17] offset:7168
	s_waitcnt lgkmcnt(1)
	v_mul_f64 v[8:9], v[2:3], v[246:247]
	v_mul_f64 v[10:11], v[0:1], v[246:247]
	v_fma_f64 v[8:9], v[0:1], v[244:245], -v[8:9]
	v_fmac_f64_e32 v[10:11], v[2:3], v[244:245]
	ds_write_b128 v4, v[8:11] offset:15232
	s_waitcnt lgkmcnt(0)
	; wave barrier
	s_waitcnt lgkmcnt(0)
	ds_read_b128 v[0:3], v4
	ds_read_b128 v[8:11], v4 offset:8064
	ds_read_b128 v[12:15], v4 offset:896
	;; [unrolled: 1-line block ×17, first 2 shown]
	s_waitcnt lgkmcnt(14)
	v_add_f64 v[8:9], v[0:1], -v[8:9]
	v_add_f64 v[10:11], v[2:3], -v[10:11]
	v_fma_f64 v[0:1], v[0:1], 2.0, -v[8:9]
	v_fma_f64 v[2:3], v[2:3], 2.0, -v[10:11]
	v_add_f64 v[16:17], v[12:13], -v[16:17]
	v_add_f64 v[18:19], v[14:15], -v[18:19]
	v_fma_f64 v[12:13], v[12:13], 2.0, -v[16:17]
	v_fma_f64 v[14:15], v[14:15], 2.0, -v[18:19]
	s_waitcnt lgkmcnt(12)
	v_add_f64 v[24:25], v[20:21], -v[24:25]
	v_add_f64 v[26:27], v[22:23], -v[26:27]
	s_waitcnt lgkmcnt(0)
	; wave barrier
	s_waitcnt lgkmcnt(0)
	ds_write_b128 v172, v[0:3]
	ds_write_b128 v172, v[8:11] offset:16
	v_accvgpr_read_b32 v0, a76
	v_fma_f64 v[20:21], v[20:21], 2.0, -v[24:25]
	v_fma_f64 v[22:23], v[22:23], 2.0, -v[26:27]
	v_add_f64 v[32:33], v[28:29], -v[32:33]
	v_add_f64 v[34:35], v[30:31], -v[34:35]
	ds_write_b128 v0, v[12:15]
	ds_write_b128 v0, v[16:19] offset:16
	v_accvgpr_read_b32 v0, a77
	v_fma_f64 v[28:29], v[28:29], 2.0, -v[32:33]
	v_fma_f64 v[30:31], v[30:31], 2.0, -v[34:35]
	v_add_f64 v[48:49], v[36:37], -v[48:49]
	v_add_f64 v[50:51], v[38:39], -v[50:51]
	;; [unrolled: 7-line block ×6, first 2 shown]
	ds_write_b128 v0, v[60:63]
	ds_write_b128 v0, v[64:67] offset:16
	v_accvgpr_read_b32 v0, a82
	v_fma_f64 v[164:165], v[164:165], 2.0, -v[168:169]
	v_fma_f64 v[166:167], v[166:167], 2.0, -v[170:171]
	ds_write_b128 v0, v[68:71]
	ds_write_b128 v0, v[160:163] offset:16
	v_accvgpr_read_b32 v0, a83
	ds_write_b128 v0, v[164:167]
	ds_write_b128 v0, v[168:171] offset:16
	s_waitcnt lgkmcnt(0)
	; wave barrier
	s_waitcnt lgkmcnt(0)
	ds_read_b128 v[0:3], v4
	ds_read_b128 v[8:11], v4 offset:8064
	ds_read_b128 v[12:15], v4 offset:896
	;; [unrolled: 1-line block ×17, first 2 shown]
	s_waitcnt lgkmcnt(14)
	v_mul_f64 v[172:173], v[74:75], v[10:11]
	v_fmac_f64_e32 v[172:173], v[72:73], v[8:9]
	v_mul_f64 v[8:9], v[74:75], v[8:9]
	v_fma_f64 v[10:11], v[72:73], v[10:11], -v[8:9]
	v_mul_f64 v[8:9], v[74:75], v[16:17]
	v_mul_f64 v[174:175], v[74:75], v[18:19]
	v_fma_f64 v[18:19], v[72:73], v[18:19], -v[8:9]
	s_waitcnt lgkmcnt(12)
	v_mul_f64 v[8:9], v[74:75], v[24:25]
	v_mul_f64 v[236:237], v[74:75], v[26:27]
	v_fma_f64 v[26:27], v[72:73], v[26:27], -v[8:9]
	s_waitcnt lgkmcnt(10)
	;; [unrolled: 4-line block ×6, first 2 shown]
	v_mul_f64 v[246:247], v[74:75], v[162:163]
	v_mul_f64 v[8:9], v[74:75], v[160:161]
	v_fmac_f64_e32 v[246:247], v[72:73], v[160:161]
	v_fma_f64 v[160:161], v[72:73], v[162:163], -v[8:9]
	s_waitcnt lgkmcnt(0)
	v_mul_f64 v[162:163], v[74:75], v[170:171]
	v_mul_f64 v[8:9], v[74:75], v[168:169]
	v_fmac_f64_e32 v[174:175], v[72:73], v[16:17]
	v_fmac_f64_e32 v[162:163], v[72:73], v[168:169]
	v_fma_f64 v[168:169], v[72:73], v[170:171], -v[8:9]
	v_add_f64 v[8:9], v[0:1], -v[172:173]
	v_add_f64 v[10:11], v[2:3], -v[10:11]
	v_fmac_f64_e32 v[236:237], v[72:73], v[24:25]
	v_fma_f64 v[0:1], v[0:1], 2.0, -v[8:9]
	v_fma_f64 v[2:3], v[2:3], 2.0, -v[10:11]
	v_add_f64 v[16:17], v[12:13], -v[174:175]
	v_add_f64 v[18:19], v[14:15], -v[18:19]
	v_add_f64 v[74:75], v[70:71], -v[160:161]
	v_add_f64 v[160:161], v[164:165], -v[162:163]
	v_add_f64 v[162:163], v[166:167], -v[168:169]
	v_accvgpr_read_b32 v168, a84
	v_fmac_f64_e32 v[238:239], v[72:73], v[32:33]
	v_fma_f64 v[12:13], v[12:13], 2.0, -v[16:17]
	v_fma_f64 v[14:15], v[14:15], 2.0, -v[18:19]
	v_add_f64 v[24:25], v[20:21], -v[236:237]
	v_add_f64 v[26:27], v[22:23], -v[26:27]
	s_waitcnt lgkmcnt(0)
	; wave barrier
	ds_write_b128 v168, v[0:3]
	ds_write_b128 v168, v[8:11] offset:32
	v_accvgpr_read_b32 v0, a85
	v_fmac_f64_e32 v[240:241], v[72:73], v[48:49]
	v_fma_f64 v[20:21], v[20:21], 2.0, -v[24:25]
	v_fma_f64 v[22:23], v[22:23], 2.0, -v[26:27]
	v_add_f64 v[32:33], v[28:29], -v[238:239]
	v_add_f64 v[34:35], v[30:31], -v[34:35]
	ds_write_b128 v0, v[12:15]
	ds_write_b128 v0, v[16:19] offset:32
	v_accvgpr_read_b32 v0, a86
	v_fmac_f64_e32 v[242:243], v[72:73], v[56:57]
	v_fma_f64 v[28:29], v[28:29], 2.0, -v[32:33]
	v_fma_f64 v[30:31], v[30:31], 2.0, -v[34:35]
	v_add_f64 v[48:49], v[36:37], -v[240:241]
	v_add_f64 v[50:51], v[38:39], -v[50:51]
	;; [unrolled: 8-line block ×3, first 2 shown]
	ds_write_b128 v0, v[28:31]
	ds_write_b128 v0, v[32:35] offset:32
	v_accvgpr_read_b32 v0, a88
	v_fma_f64 v[52:53], v[52:53], 2.0, -v[56:57]
	v_fma_f64 v[54:55], v[54:55], 2.0, -v[58:59]
	v_add_f64 v[64:65], v[60:61], -v[244:245]
	v_add_f64 v[66:67], v[62:63], -v[66:67]
	ds_write_b128 v0, v[36:39]
	ds_write_b128 v0, v[48:51] offset:32
	v_accvgpr_read_b32 v0, a89
	v_fma_f64 v[60:61], v[60:61], 2.0, -v[64:65]
	v_fma_f64 v[62:63], v[62:63], 2.0, -v[66:67]
	v_add_f64 v[72:73], v[68:69], -v[246:247]
	ds_write_b128 v0, v[52:55]
	ds_write_b128 v0, v[56:59] offset:32
	v_accvgpr_read_b32 v0, a90
	v_fma_f64 v[68:69], v[68:69], 2.0, -v[72:73]
	v_fma_f64 v[70:71], v[70:71], 2.0, -v[74:75]
	ds_write_b128 v0, v[60:63]
	ds_write_b128 v0, v[64:67] offset:32
	v_accvgpr_read_b32 v0, a91
	v_fma_f64 v[164:165], v[164:165], 2.0, -v[160:161]
	v_fma_f64 v[166:167], v[166:167], 2.0, -v[162:163]
	ds_write_b128 v0, v[68:71]
	ds_write_b128 v0, v[72:75] offset:32
	v_accvgpr_read_b32 v0, a92
	ds_write_b128 v0, v[164:167]
	ds_write_b128 v0, v[160:163] offset:32
	s_waitcnt lgkmcnt(0)
	; wave barrier
	s_waitcnt lgkmcnt(0)
	ds_read_b128 v[0:3], v4
	ds_read_b128 v[8:11], v4 offset:8064
	ds_read_b128 v[12:15], v4 offset:896
	;; [unrolled: 1-line block ×17, first 2 shown]
	s_waitcnt lgkmcnt(14)
	v_mul_f64 v[168:169], v[78:79], v[10:11]
	v_fmac_f64_e32 v[168:169], v[76:77], v[8:9]
	v_mul_f64 v[8:9], v[78:79], v[8:9]
	v_fma_f64 v[10:11], v[76:77], v[10:11], -v[8:9]
	v_mul_f64 v[8:9], v[78:79], v[16:17]
	v_mul_f64 v[170:171], v[78:79], v[18:19]
	v_fma_f64 v[18:19], v[76:77], v[18:19], -v[8:9]
	s_waitcnt lgkmcnt(12)
	v_mul_f64 v[8:9], v[78:79], v[24:25]
	v_mul_f64 v[172:173], v[78:79], v[26:27]
	v_fma_f64 v[26:27], v[76:77], v[26:27], -v[8:9]
	s_waitcnt lgkmcnt(10)
	;; [unrolled: 4-line block ×7, first 2 shown]
	v_mul_f64 v[8:9], v[78:79], v[164:165]
	v_fmac_f64_e32 v[170:171], v[76:77], v[16:17]
	v_mul_f64 v[244:245], v[78:79], v[166:167]
	v_fma_f64 v[78:79], v[76:77], v[166:167], -v[8:9]
	v_add_f64 v[8:9], v[0:1], -v[168:169]
	v_add_f64 v[10:11], v[2:3], -v[10:11]
	v_fmac_f64_e32 v[172:173], v[76:77], v[24:25]
	v_fmac_f64_e32 v[244:245], v[76:77], v[164:165]
	v_fma_f64 v[0:1], v[0:1], 2.0, -v[8:9]
	v_fma_f64 v[2:3], v[2:3], 2.0, -v[10:11]
	v_add_f64 v[16:17], v[12:13], -v[170:171]
	v_add_f64 v[18:19], v[14:15], -v[18:19]
	v_accvgpr_read_b32 v164, a93
	v_fmac_f64_e32 v[174:175], v[76:77], v[32:33]
	v_fma_f64 v[12:13], v[12:13], 2.0, -v[16:17]
	v_fma_f64 v[14:15], v[14:15], 2.0, -v[18:19]
	v_add_f64 v[24:25], v[20:21], -v[172:173]
	v_add_f64 v[26:27], v[22:23], -v[26:27]
	s_waitcnt lgkmcnt(0)
	; wave barrier
	ds_write_b128 v164, v[0:3]
	ds_write_b128 v164, v[8:11] offset:64
	v_accvgpr_read_b32 v0, a94
	v_fmac_f64_e32 v[236:237], v[76:77], v[48:49]
	v_fma_f64 v[20:21], v[20:21], 2.0, -v[24:25]
	v_fma_f64 v[22:23], v[22:23], 2.0, -v[26:27]
	v_add_f64 v[32:33], v[28:29], -v[174:175]
	v_add_f64 v[34:35], v[30:31], -v[34:35]
	ds_write_b128 v0, v[12:15]
	ds_write_b128 v0, v[16:19] offset:64
	v_accvgpr_read_b32 v0, a95
	v_fmac_f64_e32 v[238:239], v[76:77], v[56:57]
	v_fma_f64 v[28:29], v[28:29], 2.0, -v[32:33]
	v_fma_f64 v[30:31], v[30:31], 2.0, -v[34:35]
	v_add_f64 v[48:49], v[36:37], -v[236:237]
	v_add_f64 v[50:51], v[38:39], -v[50:51]
	;; [unrolled: 8-line block ×4, first 2 shown]
	ds_write_b128 v0, v[36:39]
	ds_write_b128 v0, v[48:51] offset:64
	v_accvgpr_read_b32 v0, a98
	v_fma_f64 v[60:61], v[60:61], 2.0, -v[64:65]
	v_fma_f64 v[62:63], v[62:63], 2.0, -v[66:67]
	v_add_f64 v[72:73], v[68:69], -v[242:243]
	v_add_f64 v[74:75], v[70:71], -v[74:75]
	ds_write_b128 v0, v[52:55]
	ds_write_b128 v0, v[56:59] offset:64
	v_accvgpr_read_b32 v0, a99
	v_fma_f64 v[68:69], v[68:69], 2.0, -v[72:73]
	v_fma_f64 v[70:71], v[70:71], 2.0, -v[74:75]
	v_add_f64 v[76:77], v[160:161], -v[244:245]
	v_add_f64 v[78:79], v[162:163], -v[78:79]
	ds_write_b128 v0, v[60:63]
	ds_write_b128 v0, v[64:67] offset:64
	v_accvgpr_read_b32 v0, a100
	v_fma_f64 v[160:161], v[160:161], 2.0, -v[76:77]
	v_fma_f64 v[162:163], v[162:163], 2.0, -v[78:79]
	ds_write_b128 v0, v[68:71]
	ds_write_b128 v0, v[72:75] offset:64
	v_accvgpr_read_b32 v0, a101
	ds_write_b128 v0, v[160:163]
	ds_write_b128 v0, v[76:79] offset:64
	s_waitcnt lgkmcnt(0)
	; wave barrier
	s_waitcnt lgkmcnt(0)
	ds_read_b128 v[0:3], v4
	ds_read_b128 v[8:11], v4 offset:8064
	ds_read_b128 v[12:15], v4 offset:896
	;; [unrolled: 1-line block ×17, first 2 shown]
	s_waitcnt lgkmcnt(14)
	v_mul_f64 v[164:165], v[82:83], v[10:11]
	v_fmac_f64_e32 v[164:165], v[80:81], v[8:9]
	v_mul_f64 v[8:9], v[82:83], v[8:9]
	v_fma_f64 v[10:11], v[80:81], v[10:11], -v[8:9]
	v_mul_f64 v[8:9], v[82:83], v[16:17]
	v_mul_f64 v[166:167], v[82:83], v[18:19]
	v_fma_f64 v[18:19], v[80:81], v[18:19], -v[8:9]
	s_waitcnt lgkmcnt(12)
	v_mul_f64 v[8:9], v[82:83], v[24:25]
	v_mul_f64 v[168:169], v[82:83], v[26:27]
	v_fma_f64 v[26:27], v[80:81], v[26:27], -v[8:9]
	s_waitcnt lgkmcnt(10)
	;; [unrolled: 4-line block ×7, first 2 shown]
	v_mul_f64 v[8:9], v[82:83], v[160:161]
	v_fmac_f64_e32 v[166:167], v[80:81], v[16:17]
	v_mul_f64 v[240:241], v[82:83], v[162:163]
	v_fma_f64 v[82:83], v[80:81], v[162:163], -v[8:9]
	v_add_f64 v[8:9], v[0:1], -v[164:165]
	v_add_f64 v[10:11], v[2:3], -v[10:11]
	v_fmac_f64_e32 v[168:169], v[80:81], v[24:25]
	v_fmac_f64_e32 v[240:241], v[80:81], v[160:161]
	v_fma_f64 v[0:1], v[0:1], 2.0, -v[8:9]
	v_fma_f64 v[2:3], v[2:3], 2.0, -v[10:11]
	v_add_f64 v[16:17], v[12:13], -v[166:167]
	v_add_f64 v[18:19], v[14:15], -v[18:19]
	v_accvgpr_read_b32 v160, a102
	v_fmac_f64_e32 v[170:171], v[80:81], v[32:33]
	v_fma_f64 v[12:13], v[12:13], 2.0, -v[16:17]
	v_fma_f64 v[14:15], v[14:15], 2.0, -v[18:19]
	v_add_f64 v[24:25], v[20:21], -v[168:169]
	v_add_f64 v[26:27], v[22:23], -v[26:27]
	s_waitcnt lgkmcnt(0)
	; wave barrier
	ds_write_b128 v160, v[0:3]
	ds_write_b128 v160, v[8:11] offset:128
	v_accvgpr_read_b32 v0, a103
	v_fmac_f64_e32 v[172:173], v[80:81], v[48:49]
	v_fma_f64 v[20:21], v[20:21], 2.0, -v[24:25]
	v_fma_f64 v[22:23], v[22:23], 2.0, -v[26:27]
	v_add_f64 v[32:33], v[28:29], -v[170:171]
	v_add_f64 v[34:35], v[30:31], -v[34:35]
	ds_write_b128 v0, v[12:15]
	ds_write_b128 v0, v[16:19] offset:128
	v_accvgpr_read_b32 v0, a104
	v_fmac_f64_e32 v[174:175], v[80:81], v[56:57]
	v_fma_f64 v[28:29], v[28:29], 2.0, -v[32:33]
	v_fma_f64 v[30:31], v[30:31], 2.0, -v[34:35]
	v_add_f64 v[48:49], v[36:37], -v[172:173]
	v_add_f64 v[50:51], v[38:39], -v[50:51]
	;; [unrolled: 8-line block ×4, first 2 shown]
	ds_write_b128 v0, v[36:39]
	ds_write_b128 v0, v[48:51] offset:128
	v_accvgpr_read_b32 v0, a107
	v_fma_f64 v[60:61], v[60:61], 2.0, -v[64:65]
	v_fma_f64 v[62:63], v[62:63], 2.0, -v[66:67]
	v_add_f64 v[72:73], v[68:69], -v[238:239]
	v_add_f64 v[74:75], v[70:71], -v[74:75]
	ds_write_b128 v0, v[52:55]
	ds_write_b128 v0, v[56:59] offset:128
	v_accvgpr_read_b32 v0, a108
	v_fma_f64 v[68:69], v[68:69], 2.0, -v[72:73]
	v_fma_f64 v[70:71], v[70:71], 2.0, -v[74:75]
	v_add_f64 v[80:81], v[76:77], -v[240:241]
	v_add_f64 v[82:83], v[78:79], -v[82:83]
	ds_write_b128 v0, v[60:63]
	ds_write_b128 v0, v[64:67] offset:128
	v_accvgpr_read_b32 v0, a109
	v_fma_f64 v[76:77], v[76:77], 2.0, -v[80:81]
	v_fma_f64 v[78:79], v[78:79], 2.0, -v[82:83]
	ds_write_b128 v0, v[68:71]
	ds_write_b128 v0, v[72:75] offset:128
	v_accvgpr_read_b32 v0, a110
	ds_write_b128 v0, v[76:79]
	ds_write_b128 v0, v[80:83] offset:128
	s_waitcnt lgkmcnt(0)
	; wave barrier
	s_waitcnt lgkmcnt(0)
	ds_read_b128 v[0:3], v4
	ds_read_b128 v[8:11], v4 offset:5376
	ds_read_b128 v[12:15], v4 offset:10752
	;; [unrolled: 1-line block ×17, first 2 shown]
	s_waitcnt lgkmcnt(14)
	v_mul_f64 v[64:65], v[90:91], v[10:11]
	v_fmac_f64_e32 v[64:65], v[88:89], v[8:9]
	v_mul_f64 v[8:9], v[90:91], v[8:9]
	v_fma_f64 v[66:67], v[88:89], v[10:11], -v[8:9]
	v_mul_f64 v[8:9], v[86:87], v[12:13]
	v_accvgpr_read_b32 v10, a112
	v_mul_f64 v[68:69], v[86:87], v[14:15]
	v_fma_f64 v[14:15], v[84:85], v[14:15], -v[8:9]
	v_accvgpr_read_b32 v11, a113
	s_waitcnt lgkmcnt(13)
	v_mul_f64 v[8:9], v[94:95], v[16:17]
	v_mul_f64 v[70:71], v[94:95], v[18:19]
	v_fma_f64 v[94:95], v[10:11], v[18:19], -v[8:9]
	s_waitcnt lgkmcnt(12)
	v_mul_f64 v[8:9], v[98:99], v[20:21]
	v_mul_f64 v[160:161], v[98:99], v[22:23]
	v_fma_f64 v[22:23], v[102:103], v[22:23], -v[8:9]
	s_waitcnt lgkmcnt(10)
	v_mul_f64 v[8:9], v[90:91], v[24:25]
	v_fmac_f64_e32 v[160:161], v[102:103], v[20:21]
	v_fma_f64 v[102:103], v[88:89], v[26:27], -v[8:9]
	s_waitcnt lgkmcnt(9)
	v_mul_f64 v[8:9], v[86:87], v[28:29]
	v_mul_f64 v[162:163], v[86:87], v[30:31]
	v_fma_f64 v[30:31], v[84:85], v[30:31], -v[8:9]
	s_waitcnt lgkmcnt(7)
	v_mul_f64 v[164:165], v[106:107], v[34:35]
	v_mul_f64 v[8:9], v[106:107], v[32:33]
	v_fmac_f64_e32 v[164:165], v[104:105], v[32:33]
	v_fma_f64 v[104:105], v[104:105], v[34:35], -v[8:9]
	s_waitcnt lgkmcnt(6)
	v_mul_f64 v[106:107], v[110:111], v[38:39]
	v_mul_f64 v[8:9], v[110:111], v[36:37]
	;; [unrolled: 1-line block ×3, first 2 shown]
	v_fmac_f64_e32 v[106:107], v[108:109], v[36:37]
	v_fma_f64 v[38:39], v[108:109], v[38:39], -v[8:9]
	s_waitcnt lgkmcnt(4)
	v_mul_f64 v[108:109], v[90:91], v[50:51]
	v_mul_f64 v[8:9], v[90:91], v[48:49]
	v_fmac_f64_e32 v[98:99], v[88:89], v[24:25]
	v_fmac_f64_e32 v[108:109], v[88:89], v[48:49]
	v_fma_f64 v[88:89], v[88:89], v[50:51], -v[8:9]
	s_waitcnt lgkmcnt(3)
	v_mul_f64 v[8:9], v[86:87], v[52:53]
	v_mul_f64 v[90:91], v[86:87], v[54:55]
	v_fma_f64 v[54:55], v[84:85], v[54:55], -v[8:9]
	s_waitcnt lgkmcnt(1)
	v_mul_f64 v[8:9], v[100:101], v[56:57]
	v_fma_f64 v[86:87], v[92:93], v[58:59], -v[8:9]
	v_accvgpr_read_b32 v8, a116
	v_fmac_f64_e32 v[68:69], v[84:85], v[12:13]
	v_fmac_f64_e32 v[162:163], v[84:85], v[28:29]
	;; [unrolled: 1-line block ×3, first 2 shown]
	v_mul_f64 v[84:85], v[100:101], v[58:59]
	v_accvgpr_read_b32 v9, a117
	v_fmac_f64_e32 v[70:71], v[10:11], v[16:17]
	v_fmac_f64_e32 v[84:85], v[92:93], v[56:57]
	s_waitcnt lgkmcnt(0)
	v_mul_f64 v[92:93], v[8:9], v[62:63]
	v_mul_f64 v[8:9], v[8:9], v[60:61]
	v_add_f64 v[10:11], v[64:65], v[68:69]
	v_fma_f64 v[62:63], v[96:97], v[62:63], -v[8:9]
	v_add_f64 v[8:9], v[0:1], v[64:65]
	v_fmac_f64_e32 v[0:1], -0.5, v[10:11]
	v_add_f64 v[10:11], v[66:67], -v[14:15]
	v_fma_f64 v[12:13], s[0:1], v[10:11], v[0:1]
	v_fmac_f64_e32 v[0:1], s[8:9], v[10:11]
	v_add_f64 v[10:11], v[2:3], v[66:67]
	v_add_f64 v[10:11], v[10:11], v[14:15]
	v_add_f64 v[14:15], v[66:67], v[14:15]
	v_fmac_f64_e32 v[2:3], -0.5, v[14:15]
	v_add_f64 v[16:17], v[64:65], -v[68:69]
	v_add_f64 v[18:19], v[70:71], v[160:161]
	v_fma_f64 v[14:15], s[8:9], v[16:17], v[2:3]
	v_fmac_f64_e32 v[2:3], s[0:1], v[16:17]
	v_add_f64 v[16:17], v[72:73], v[70:71]
	v_fmac_f64_e32 v[72:73], -0.5, v[18:19]
	v_add_f64 v[18:19], v[94:95], -v[22:23]
	v_fma_f64 v[20:21], s[0:1], v[18:19], v[72:73]
	v_fmac_f64_e32 v[72:73], s[8:9], v[18:19]
	v_add_f64 v[18:19], v[74:75], v[94:95]
	v_add_f64 v[18:19], v[18:19], v[22:23]
	v_add_f64 v[22:23], v[94:95], v[22:23]
	v_fmac_f64_e32 v[74:75], -0.5, v[22:23]
	v_add_f64 v[24:25], v[70:71], -v[160:161]
	v_add_f64 v[26:27], v[98:99], v[162:163]
	v_fma_f64 v[22:23], s[8:9], v[24:25], v[74:75]
	v_fmac_f64_e32 v[74:75], s[0:1], v[24:25]
	v_add_f64 v[24:25], v[76:77], v[98:99]
	v_fmac_f64_e32 v[76:77], -0.5, v[26:27]
	v_add_f64 v[26:27], v[102:103], -v[30:31]
	v_fma_f64 v[28:29], s[0:1], v[26:27], v[76:77]
	v_fmac_f64_e32 v[76:77], s[8:9], v[26:27]
	v_add_f64 v[26:27], v[78:79], v[102:103]
	v_add_f64 v[26:27], v[26:27], v[30:31]
	v_add_f64 v[30:31], v[102:103], v[30:31]
	v_fmac_f64_e32 v[78:79], -0.5, v[30:31]
	v_add_f64 v[32:33], v[98:99], -v[162:163]
	v_add_f64 v[34:35], v[164:165], v[106:107]
	v_fma_f64 v[30:31], s[8:9], v[32:33], v[78:79]
	v_fmac_f64_e32 v[78:79], s[0:1], v[32:33]
	v_add_f64 v[32:33], v[80:81], v[164:165]
	v_fmac_f64_e32 v[80:81], -0.5, v[34:35]
	v_add_f64 v[34:35], v[104:105], -v[38:39]
	v_fma_f64 v[36:37], s[0:1], v[34:35], v[80:81]
	v_fmac_f64_e32 v[80:81], s[8:9], v[34:35]
	v_add_f64 v[34:35], v[82:83], v[104:105]
	v_add_f64 v[34:35], v[34:35], v[38:39]
	v_add_f64 v[38:39], v[104:105], v[38:39]
	v_fmac_f64_e32 v[82:83], -0.5, v[38:39]
	v_add_f64 v[48:49], v[164:165], -v[106:107]
	v_add_f64 v[50:51], v[108:109], v[90:91]
	v_fma_f64 v[38:39], s[8:9], v[48:49], v[82:83]
	v_fmac_f64_e32 v[82:83], s[0:1], v[48:49]
	v_add_f64 v[48:49], v[244:245], v[108:109]
	v_fmac_f64_e32 v[244:245], -0.5, v[50:51]
	v_add_f64 v[50:51], v[88:89], -v[54:55]
	v_fma_f64 v[52:53], s[0:1], v[50:51], v[244:245]
	v_fmac_f64_e32 v[244:245], s[8:9], v[50:51]
	v_add_f64 v[50:51], v[246:247], v[88:89]
	v_fmac_f64_e32 v[92:93], v[96:97], v[60:61]
	v_add_f64 v[50:51], v[50:51], v[54:55]
	v_add_f64 v[54:55], v[88:89], v[54:55]
	v_fmac_f64_e32 v[246:247], -0.5, v[54:55]
	v_add_f64 v[56:57], v[108:109], -v[90:91]
	v_add_f64 v[58:59], v[84:85], v[92:93]
	v_fma_f64 v[54:55], s[8:9], v[56:57], v[246:247]
	v_fmac_f64_e32 v[246:247], s[0:1], v[56:57]
	v_add_f64 v[56:57], v[248:249], v[84:85]
	v_fmac_f64_e32 v[248:249], -0.5, v[58:59]
	v_add_f64 v[58:59], v[86:87], -v[62:63]
	v_fma_f64 v[60:61], s[0:1], v[58:59], v[248:249]
	v_fmac_f64_e32 v[248:249], s[8:9], v[58:59]
	v_add_f64 v[58:59], v[250:251], v[86:87]
	v_add_f64 v[58:59], v[58:59], v[62:63]
	;; [unrolled: 1-line block ×3, first 2 shown]
	v_fmac_f64_e32 v[250:251], -0.5, v[62:63]
	v_add_f64 v[64:65], v[84:85], -v[92:93]
	v_add_f64 v[8:9], v[8:9], v[68:69]
	v_fma_f64 v[62:63], s[8:9], v[64:65], v[250:251]
	v_fmac_f64_e32 v[250:251], s[0:1], v[64:65]
	v_accvgpr_read_b32 v64, a115
	v_add_f64 v[16:17], v[16:17], v[160:161]
	s_waitcnt lgkmcnt(0)
	; wave barrier
	ds_write_b128 v64, v[8:11]
	ds_write_b128 v64, v[12:15] offset:256
	ds_write_b128 v64, v[0:3] offset:512
	v_accvgpr_read_b32 v0, a118
	v_add_f64 v[24:25], v[24:25], v[162:163]
	ds_write_b128 v0, v[16:19]
	ds_write_b128 v0, v[20:23] offset:256
	ds_write_b128 v0, v[72:75] offset:512
	v_accvgpr_read_b32 v0, a119
	v_add_f64 v[32:33], v[32:33], v[106:107]
	;; [unrolled: 5-line block ×4, first 2 shown]
	ds_write_b128 v0, v[48:51]
	ds_write_b128 v0, v[52:55] offset:256
	ds_write_b128 v0, v[244:247] offset:512
	v_accvgpr_read_b32 v0, a122
	ds_write_b128 v0, v[56:59]
	ds_write_b128 v0, v[60:63] offset:256
	ds_write_b128 v0, v[248:251] offset:512
	s_waitcnt lgkmcnt(0)
	; wave barrier
	s_waitcnt lgkmcnt(0)
	ds_read_b128 v[0:3], v4
	ds_read_b128 v[8:11], v4 offset:5376
	ds_read_b128 v[12:15], v4 offset:10752
	ds_read_b128 v[88:91], v4 offset:896
	ds_read_b128 v[16:19], v4 offset:6272
	ds_read_b128 v[20:23], v4 offset:11648
	ds_read_b128 v[92:95], v4 offset:1792
	ds_read_b128 v[24:27], v4 offset:7168
	ds_read_b128 v[28:31], v4 offset:12544
	ds_read_b128 v[96:99], v4 offset:2688
	ds_read_b128 v[32:35], v4 offset:8064
	ds_read_b128 v[36:39], v4 offset:13440
	ds_read_b128 v[72:75], v4 offset:3584
	ds_read_b128 v[48:51], v4 offset:8960
	ds_read_b128 v[52:55], v4 offset:14336
	ds_read_b128 v[76:79], v4 offset:4480
	ds_read_b128 v[56:59], v4 offset:9856
	ds_read_b128 v[60:63], v4 offset:15232
	s_waitcnt lgkmcnt(14)
	v_mul_f64 v[64:65], v[114:115], v[10:11]
	v_fmac_f64_e32 v[64:65], v[112:113], v[8:9]
	v_mul_f64 v[8:9], v[114:115], v[8:9]
	v_fma_f64 v[66:67], v[112:113], v[10:11], -v[8:9]
	v_mul_f64 v[8:9], v[118:119], v[12:13]
	v_mul_f64 v[68:69], v[118:119], v[14:15]
	v_fma_f64 v[14:15], v[116:117], v[14:15], -v[8:9]
	s_waitcnt lgkmcnt(13)
	v_mul_f64 v[8:9], v[122:123], v[16:17]
	v_fma_f64 v[80:81], v[120:121], v[18:19], -v[8:9]
	s_waitcnt lgkmcnt(12)
	v_mul_f64 v[8:9], v[126:127], v[20:21]
	v_mul_f64 v[82:83], v[126:127], v[22:23]
	v_fma_f64 v[22:23], v[124:125], v[22:23], -v[8:9]
	s_waitcnt lgkmcnt(10)
	v_mul_f64 v[8:9], v[130:131], v[24:25]
	v_fma_f64 v[86:87], v[128:129], v[26:27], -v[8:9]
	s_waitcnt lgkmcnt(9)
	;; [unrolled: 7-line block ×4, first 2 shown]
	v_mul_f64 v[8:9], v[150:151], v[52:53]
	v_fmac_f64_e32 v[68:69], v[116:117], v[12:13]
	v_mul_f64 v[112:113], v[150:151], v[54:55]
	v_fma_f64 v[54:55], v[148:149], v[54:55], -v[8:9]
	s_waitcnt lgkmcnt(1)
	v_mul_f64 v[114:115], v[154:155], v[58:59]
	v_mul_f64 v[8:9], v[154:155], v[56:57]
	v_fmac_f64_e32 v[114:115], v[152:153], v[56:57]
	v_fma_f64 v[56:57], v[152:153], v[58:59], -v[8:9]
	s_waitcnt lgkmcnt(0)
	v_mul_f64 v[58:59], v[158:159], v[62:63]
	v_mul_f64 v[8:9], v[158:159], v[60:61]
	v_add_f64 v[10:11], v[64:65], v[68:69]
	v_fmac_f64_e32 v[58:59], v[156:157], v[60:61]
	v_fma_f64 v[60:61], v[156:157], v[62:63], -v[8:9]
	v_add_f64 v[8:9], v[0:1], v[64:65]
	v_fmac_f64_e32 v[0:1], -0.5, v[10:11]
	v_add_f64 v[10:11], v[66:67], -v[14:15]
	v_mul_f64 v[70:71], v[122:123], v[18:19]
	v_fma_f64 v[12:13], s[0:1], v[10:11], v[0:1]
	v_fmac_f64_e32 v[0:1], s[8:9], v[10:11]
	v_add_f64 v[10:11], v[2:3], v[66:67]
	v_fmac_f64_e32 v[70:71], v[120:121], v[16:17]
	v_fmac_f64_e32 v[82:83], v[124:125], v[20:21]
	v_add_f64 v[10:11], v[10:11], v[14:15]
	v_add_f64 v[14:15], v[66:67], v[14:15]
	v_fmac_f64_e32 v[2:3], -0.5, v[14:15]
	v_add_f64 v[16:17], v[64:65], -v[68:69]
	v_add_f64 v[18:19], v[70:71], v[82:83]
	v_fma_f64 v[14:15], s[8:9], v[16:17], v[2:3]
	v_fmac_f64_e32 v[2:3], s[0:1], v[16:17]
	v_add_f64 v[16:17], v[88:89], v[70:71]
	v_fmac_f64_e32 v[88:89], -0.5, v[18:19]
	v_add_f64 v[18:19], v[80:81], -v[22:23]
	v_mul_f64 v[84:85], v[130:131], v[26:27]
	v_fma_f64 v[20:21], s[0:1], v[18:19], v[88:89]
	v_fmac_f64_e32 v[88:89], s[8:9], v[18:19]
	v_add_f64 v[18:19], v[90:91], v[80:81]
	v_fmac_f64_e32 v[84:85], v[128:129], v[24:25]
	v_fmac_f64_e32 v[100:101], v[132:133], v[28:29]
	v_add_f64 v[18:19], v[18:19], v[22:23]
	v_add_f64 v[22:23], v[80:81], v[22:23]
	v_fmac_f64_e32 v[90:91], -0.5, v[22:23]
	v_add_f64 v[24:25], v[70:71], -v[82:83]
	v_add_f64 v[26:27], v[84:85], v[100:101]
	v_fma_f64 v[22:23], s[8:9], v[24:25], v[90:91]
	v_fmac_f64_e32 v[90:91], s[0:1], v[24:25]
	;; [unrolled: 16-line block ×4, first 2 shown]
	v_add_f64 v[48:49], v[72:73], v[108:109]
	v_fmac_f64_e32 v[72:73], -0.5, v[50:51]
	v_add_f64 v[50:51], v[110:111], -v[54:55]
	v_fma_f64 v[52:53], s[0:1], v[50:51], v[72:73]
	v_fmac_f64_e32 v[72:73], s[8:9], v[50:51]
	v_add_f64 v[50:51], v[74:75], v[110:111]
	v_add_f64 v[50:51], v[50:51], v[54:55]
	v_add_f64 v[54:55], v[110:111], v[54:55]
	v_fmac_f64_e32 v[74:75], -0.5, v[54:55]
	v_add_f64 v[62:63], v[108:109], -v[112:113]
	v_fma_f64 v[54:55], s[8:9], v[62:63], v[74:75]
	v_fmac_f64_e32 v[74:75], s[0:1], v[62:63]
	v_add_f64 v[62:63], v[76:77], v[114:115]
	v_add_f64 v[80:81], v[62:63], v[58:59]
	;; [unrolled: 7-line block ×3, first 2 shown]
	v_fmac_f64_e32 v[78:79], -0.5, v[56:57]
	v_add_f64 v[56:57], v[114:115], -v[58:59]
	v_add_f64 v[8:9], v[8:9], v[68:69]
	v_fma_f64 v[86:87], s[8:9], v[56:57], v[78:79]
	v_fmac_f64_e32 v[78:79], s[0:1], v[56:57]
	v_accvgpr_read_b32 v56, a123
	v_add_f64 v[16:17], v[16:17], v[82:83]
	s_waitcnt lgkmcnt(0)
	; wave barrier
	ds_write_b128 v56, v[8:11]
	ds_write_b128 v56, v[12:15] offset:768
	ds_write_b128 v56, v[0:3] offset:1536
	v_accvgpr_read_b32 v0, a136
	v_add_f64 v[24:25], v[24:25], v[100:101]
	ds_write_b128 v0, v[16:19]
	ds_write_b128 v0, v[20:23] offset:768
	ds_write_b128 v0, v[88:91] offset:1536
	v_accvgpr_read_b32 v0, a137
	v_add_f64 v[32:33], v[32:33], v[106:107]
	;; [unrolled: 5-line block ×3, first 2 shown]
	v_add_f64 v[82:83], v[62:63], v[60:61]
	ds_write_b128 v0, v[32:35]
	ds_write_b128 v0, v[36:39] offset:768
	ds_write_b128 v0, v[96:99] offset:1536
	ds_write_b128 v7, v[48:51]
	ds_write_b128 v7, v[52:55] offset:768
	ds_write_b128 v7, v[72:75] offset:1536
	;; [unrolled: 3-line block ×3, first 2 shown]
	s_waitcnt lgkmcnt(0)
	; wave barrier
	s_waitcnt lgkmcnt(0)
	ds_read_b128 v[88:91], v4
	ds_read_b128 v[136:139], v4 offset:2304
	ds_read_b128 v[132:135], v4 offset:4608
	;; [unrolled: 1-line block ×13, first 2 shown]
	s_and_saveexec_b64 s[0:1], vcc
	s_cbranch_execz .LBB0_7
; %bb.6:
	ds_read_b128 v[72:75], v4 offset:1792
	ds_read_b128 v[80:83], v4 offset:4096
	;; [unrolled: 1-line block ×7, first 2 shown]
.LBB0_7:
	s_or_b64 exec, exec, s[0:1]
	s_waitcnt lgkmcnt(12)
	v_mul_f64 v[8:9], v[198:199], v[138:139]
	s_waitcnt lgkmcnt(11)
	v_mul_f64 v[12:13], v[190:191], v[134:135]
	;; [unrolled: 2-line block ×4, first 2 shown]
	v_fmac_f64_e32 v[8:9], v[196:197], v[136:137]
	v_mul_f64 v[10:11], v[198:199], v[136:137]
	v_fmac_f64_e32 v[12:13], v[188:189], v[132:133]
	v_mul_f64 v[14:15], v[190:191], v[132:133]
	v_mul_f64 v[16:17], v[186:187], v[130:131]
	;; [unrolled: 1-line block ×3, first 2 shown]
	v_fmac_f64_e32 v[24:25], v[204:205], v[104:105]
	v_mul_f64 v[26:27], v[206:207], v[104:105]
	v_fmac_f64_e32 v[28:29], v[192:193], v[92:93]
	v_mul_f64 v[30:31], v[194:195], v[92:93]
	v_fma_f64 v[10:11], v[196:197], v[138:139], -v[10:11]
	v_fma_f64 v[14:15], v[188:189], v[134:135], -v[14:15]
	v_fmac_f64_e32 v[16:17], v[184:185], v[128:129]
	v_mul_f64 v[18:19], v[186:187], v[128:129]
	v_fmac_f64_e32 v[20:21], v[180:181], v[116:117]
	v_mul_f64 v[22:23], v[182:183], v[116:117]
	v_fma_f64 v[26:27], v[204:205], v[106:107], -v[26:27]
	v_fma_f64 v[30:31], v[192:193], v[94:95], -v[30:31]
	v_add_f64 v[64:65], v[8:9], v[28:29]
	v_add_f64 v[8:9], v[8:9], -v[28:29]
	v_add_f64 v[28:29], v[12:13], v[24:25]
	v_fma_f64 v[18:19], v[184:185], v[130:131], -v[18:19]
	v_fma_f64 v[22:23], v[180:181], v[118:119], -v[22:23]
	v_add_f64 v[66:67], v[10:11], v[30:31]
	v_add_f64 v[10:11], v[10:11], -v[30:31]
	v_add_f64 v[30:31], v[14:15], v[26:27]
	v_add_f64 v[12:13], v[12:13], -v[24:25]
	v_add_f64 v[24:25], v[16:17], v[20:21]
	v_add_f64 v[16:17], v[20:21], -v[16:17]
	v_add_f64 v[20:21], v[28:29], v[64:65]
	v_add_f64 v[14:15], v[14:15], -v[26:27]
	v_add_f64 v[26:27], v[18:19], v[22:23]
	v_add_f64 v[18:19], v[22:23], -v[18:19]
	v_add_f64 v[22:23], v[30:31], v[66:67]
	v_add_f64 v[20:21], v[24:25], v[20:21]
	s_waitcnt lgkmcnt(1)
	v_mul_f64 v[56:57], v[230:231], v[102:103]
	v_add_f64 v[22:23], v[26:27], v[22:23]
	v_add_f64 v[88:89], v[88:89], v[20:21]
	s_mov_b32 s12, 0x36b3c0b5
	s_mov_b32 s22, 0xaaaaaaaa
	v_fmac_f64_e32 v[56:57], v[228:229], v[100:101]
	v_mul_f64 v[58:59], v[230:231], v[100:101]
	s_waitcnt lgkmcnt(0)
	v_mul_f64 v[60:61], v[222:223], v[98:99]
	v_mul_f64 v[62:63], v[222:223], v[96:97]
	v_add_f64 v[68:69], v[28:29], -v[64:65]
	v_add_f64 v[70:71], v[30:31], -v[66:67]
	;; [unrolled: 1-line block ×6, first 2 shown]
	v_add_f64 v[90:91], v[90:91], v[22:23]
	s_mov_b32 s13, 0x3fac98ee
	s_mov_b32 s14, 0xe976ee23
	;; [unrolled: 1-line block ×4, first 2 shown]
	v_mov_b64_e32 v[100:101], v[88:89]
	s_mov_b32 s8, 0x5476071b
	v_mul_f64 v[32:33], v[226:227], v[126:127]
	v_mul_f64 v[36:37], v[218:219], v[122:123]
	v_fmac_f64_e32 v[60:61], v[220:221], v[96:97]
	v_fma_f64 v[62:63], v[220:221], v[98:99], -v[62:63]
	v_add_f64 v[92:93], v[16:17], v[12:13]
	v_add_f64 v[94:95], v[18:19], v[14:15]
	v_add_f64 v[96:97], v[16:17], -v[12:13]
	v_add_f64 v[98:99], v[18:19], -v[14:15]
	;; [unrolled: 1-line block ×4, first 2 shown]
	v_mul_f64 v[24:25], v[64:65], s[10:11]
	v_mul_f64 v[26:27], v[66:67], s[10:11]
	;; [unrolled: 1-line block ×4, first 2 shown]
	s_mov_b32 s15, 0x3fe11646
	s_mov_b32 s1, 0xbfebfeb5
	v_fmac_f64_e32 v[100:101], s[22:23], v[20:21]
	v_mov_b64_e32 v[20:21], v[90:91]
	s_mov_b32 s9, 0x3fe77f67
	s_mov_b32 s17, 0xbfe77f67
	;; [unrolled: 1-line block ×4, first 2 shown]
	v_fmac_f64_e32 v[32:33], v[224:225], v[124:125]
	v_mul_f64 v[34:35], v[226:227], v[124:125]
	v_fmac_f64_e32 v[36:37], v[216:217], v[120:121]
	v_mul_f64 v[38:39], v[218:219], v[120:121]
	v_mul_f64 v[48:49], v[214:215], v[114:115]
	;; [unrolled: 1-line block ×3, first 2 shown]
	v_add_f64 v[16:17], v[8:9], -v[16:17]
	v_add_f64 v[18:19], v[10:11], -v[18:19]
	v_add_f64 v[8:9], v[92:93], v[8:9]
	v_add_f64 v[10:11], v[94:95], v[10:11]
	v_mul_f64 v[92:93], v[96:97], s[14:15]
	v_mul_f64 v[94:95], v[98:99], s[14:15]
	v_mul_f64 v[96:97], v[12:13], s[0:1]
	v_mul_f64 v[98:99], v[14:15], s[0:1]
	v_fmac_f64_e32 v[20:21], s[22:23], v[22:23]
	v_fma_f64 v[22:23], v[68:69], s[8:9], -v[64:65]
	v_fma_f64 v[64:65], v[70:71], s[8:9], -v[66:67]
	;; [unrolled: 1-line block ×3, first 2 shown]
	v_fmac_f64_e32 v[24:25], s[12:13], v[28:29]
	s_mov_b32 s25, 0xbfd5d0dc
	s_mov_b32 s21, 0x3fd5d0dc
	s_mov_b32 s20, s24
	v_fma_f64 v[34:35], v[224:225], v[126:127], -v[34:35]
	v_fma_f64 v[38:39], v[216:217], v[122:123], -v[38:39]
	v_fmac_f64_e32 v[48:49], v[212:213], v[112:113]
	v_mul_f64 v[50:51], v[214:215], v[112:113]
	v_fmac_f64_e32 v[52:53], v[208:209], v[108:109]
	v_mul_f64 v[54:55], v[210:211], v[108:109]
	v_fma_f64 v[58:59], v[228:229], v[102:103], -v[58:59]
	v_fma_f64 v[28:29], v[70:71], s[16:17], -v[26:27]
	v_fmac_f64_e32 v[26:27], s[12:13], v[30:31]
	v_fma_f64 v[70:71], v[16:17], s[20:21], -v[96:97]
	v_fma_f64 v[96:97], v[18:19], s[20:21], -v[98:99]
	v_add_f64 v[98:99], v[24:25], v[100:101]
	v_add_f64 v[24:25], v[64:65], v[20:21]
	v_add_f64 v[64:65], v[32:33], v[60:61]
	v_add_f64 v[32:33], v[32:33], -v[60:61]
	v_add_f64 v[60:61], v[36:37], v[56:57]
	v_fma_f64 v[50:51], v[212:213], v[114:115], -v[50:51]
	v_fma_f64 v[54:55], v[208:209], v[110:111], -v[54:55]
	v_add_f64 v[102:103], v[26:27], v[20:21]
	v_add_f64 v[26:27], v[66:67], v[100:101]
	s_mov_b32 s18, 0x37c3f68c
	v_add_f64 v[66:67], v[34:35], v[62:63]
	v_add_f64 v[34:35], v[34:35], -v[62:63]
	v_add_f64 v[62:63], v[38:39], v[58:59]
	v_add_f64 v[36:37], v[36:37], -v[56:57]
	;; [unrolled: 2-line block ×3, first 2 shown]
	v_add_f64 v[52:53], v[60:61], v[64:65]
	v_fma_f64 v[30:31], v[12:13], s[0:1], -v[92:93]
	v_fmac_f64_e32 v[92:93], s[24:25], v[16:17]
	v_fma_f64 v[68:69], v[14:15], s[0:1], -v[94:95]
	v_fmac_f64_e32 v[94:95], s[24:25], v[18:19]
	s_mov_b32 s19, 0xbfdc38aa
	v_add_f64 v[38:39], v[38:39], -v[58:59]
	v_add_f64 v[58:59], v[50:51], v[54:55]
	v_add_f64 v[50:51], v[54:55], -v[50:51]
	v_add_f64 v[54:55], v[62:63], v[66:67]
	v_add_f64 v[52:53], v[56:57], v[52:53]
	;; [unrolled: 1-line block ×4, first 2 shown]
	v_fmac_f64_e32 v[92:93], s[18:19], v[8:9]
	v_fmac_f64_e32 v[94:95], s[18:19], v[10:11]
	;; [unrolled: 1-line block ×6, first 2 shown]
	v_add_f64 v[54:55], v[58:59], v[54:55]
	v_add_f64 v[0:1], v[0:1], v[52:53]
	v_add_f64 v[8:9], v[94:95], v[98:99]
	v_add_f64 v[10:11], v[102:103], -v[92:93]
	v_add_f64 v[12:13], v[96:97], v[26:27]
	v_add_f64 v[14:15], v[28:29], -v[70:71]
	v_add_f64 v[16:17], v[22:23], -v[68:69]
	v_add_f64 v[18:19], v[30:31], v[24:25]
	v_add_f64 v[20:21], v[68:69], v[22:23]
	v_add_f64 v[22:23], v[24:25], -v[30:31]
	v_add_f64 v[24:25], v[26:27], -v[96:97]
	v_add_f64 v[26:27], v[70:71], v[28:29]
	v_add_f64 v[28:29], v[98:99], -v[94:95]
	v_add_f64 v[30:31], v[92:93], v[102:103]
	v_add_f64 v[68:69], v[60:61], -v[64:65]
	v_add_f64 v[70:71], v[62:63], -v[66:67]
	v_add_f64 v[64:65], v[64:65], -v[56:57]
	v_add_f64 v[66:67], v[66:67], -v[58:59]
	v_add_f64 v[60:61], v[56:57], -v[60:61]
	v_add_f64 v[62:63], v[58:59], -v[62:63]
	v_add_f64 v[92:93], v[48:49], v[36:37]
	v_add_f64 v[94:95], v[50:51], v[38:39]
	v_add_f64 v[96:97], v[48:49], -v[36:37]
	v_add_f64 v[98:99], v[50:51], -v[38:39]
	v_add_f64 v[36:37], v[36:37], -v[32:33]
	v_add_f64 v[38:39], v[38:39], -v[34:35]
	v_add_f64 v[2:3], v[2:3], v[54:55]
	v_mov_b64_e32 v[100:101], v[0:1]
	v_add_f64 v[48:49], v[32:33], -v[48:49]
	v_add_f64 v[50:51], v[34:35], -v[50:51]
	v_add_f64 v[32:33], v[92:93], v[32:33]
	v_add_f64 v[34:35], v[94:95], v[34:35]
	v_mul_f64 v[56:57], v[64:65], s[10:11]
	v_mul_f64 v[58:59], v[66:67], s[10:11]
	;; [unrolled: 1-line block ×8, first 2 shown]
	v_fmac_f64_e32 v[100:101], s[22:23], v[52:53]
	v_mov_b64_e32 v[52:53], v[2:3]
	v_fmac_f64_e32 v[52:53], s[22:23], v[54:55]
	v_fma_f64 v[54:55], v[68:69], s[8:9], -v[64:65]
	v_fma_f64 v[64:65], v[70:71], s[8:9], -v[66:67]
	;; [unrolled: 1-line block ×3, first 2 shown]
	v_fmac_f64_e32 v[56:57], s[12:13], v[60:61]
	v_fma_f64 v[60:61], v[70:71], s[16:17], -v[58:59]
	v_fmac_f64_e32 v[58:59], s[12:13], v[62:63]
	v_fma_f64 v[62:63], v[36:37], s[0:1], -v[92:93]
	;; [unrolled: 2-line block ×4, first 2 shown]
	v_fma_f64 v[96:97], v[50:51], s[20:21], -v[98:99]
	v_add_f64 v[98:99], v[56:57], v[100:101]
	v_add_f64 v[102:103], v[58:59], v[52:53]
	;; [unrolled: 1-line block ×6, first 2 shown]
	v_fmac_f64_e32 v[92:93], s[18:19], v[32:33]
	v_fmac_f64_e32 v[94:95], s[18:19], v[34:35]
	;; [unrolled: 1-line block ×6, first 2 shown]
	v_add_f64 v[32:33], v[94:95], v[98:99]
	v_add_f64 v[34:35], v[102:103], -v[92:93]
	v_add_f64 v[36:37], v[96:97], v[58:59]
	v_add_f64 v[38:39], v[60:61], -v[70:71]
	v_add_f64 v[48:49], v[54:55], -v[68:69]
	v_add_f64 v[50:51], v[62:63], v[56:57]
	v_add_f64 v[52:53], v[68:69], v[54:55]
	v_add_f64 v[54:55], v[56:57], -v[62:63]
	v_add_f64 v[56:57], v[58:59], -v[96:97]
	v_add_f64 v[58:59], v[70:71], v[60:61]
	v_add_f64 v[60:61], v[98:99], -v[94:95]
	v_add_f64 v[62:63], v[92:93], v[102:103]
	ds_write_b128 v4, v[88:91]
	ds_write_b128 v4, v[8:11] offset:2304
	ds_write_b128 v4, v[12:15] offset:4608
	;; [unrolled: 1-line block ×13, first 2 shown]
	s_and_saveexec_b64 s[26:27], vcc
	s_cbranch_execz .LBB0_9
; %bb.8:
	v_accvgpr_read_b32 v34, a138
	v_accvgpr_read_b32 v48, a124
	;; [unrolled: 1-line block ×13, first 2 shown]
	v_mul_f64 v[0:1], v[36:37], v[82:83]
	v_mul_f64 v[8:9], v[178:179], v[46:47]
	v_accvgpr_read_b32 v49, a125
	v_mul_f64 v[14:15], v[50:51], v[234:235]
	v_accvgpr_read_b32 v53, a129
	;; [unrolled: 2-line block ×3, first 2 shown]
	v_mul_f64 v[20:21], v[58:59], v[86:87]
	v_mul_f64 v[22:23], v[202:203], v[42:43]
	v_fmac_f64_e32 v[0:1], v[34:35], v[80:81]
	v_fmac_f64_e32 v[8:9], v[176:177], v[44:45]
	;; [unrolled: 1-line block ×6, first 2 shown]
	v_add_f64 v[12:13], v[0:1], -v[8:9]
	v_add_f64 v[2:3], v[14:15], -v[16:17]
	v_add_f64 v[24:25], v[20:21], -v[22:23]
	v_add_f64 v[18:19], v[12:13], -v[2:3]
	v_add_f64 v[10:11], v[2:3], -v[24:25]
	v_add_f64 v[2:3], v[2:3], v[24:25]
	v_add_f64 v[30:31], v[2:3], v[12:13]
	v_mul_f64 v[2:3], v[178:179], v[44:45]
	v_fma_f64 v[32:33], v[176:177], v[46:47], -v[2:3]
	v_mul_f64 v[2:3], v[36:37], v[80:81]
	v_fma_f64 v[34:35], v[34:35], v[82:83], -v[2:3]
	v_mul_f64 v[2:3], v[202:203], v[40:41]
	v_mul_f64 v[26:27], v[10:11], s[14:15]
	v_fma_f64 v[38:39], v[200:201], v[42:43], -v[2:3]
	v_mul_f64 v[2:3], v[58:59], v[84:85]
	v_mul_f64 v[10:11], v[54:55], v[76:77]
	v_fma_f64 v[40:41], v[56:57], v[86:87], -v[2:3]
	v_fma_f64 v[44:45], v[52:53], v[78:79], -v[10:11]
	v_mul_f64 v[10:11], v[50:51], v[232:233]
	v_add_f64 v[56:57], v[0:1], v[8:9]
	v_add_f64 v[20:21], v[20:21], v[22:23]
	;; [unrolled: 1-line block ×4, first 2 shown]
	v_fma_f64 v[46:47], v[48:49], v[234:235], -v[10:11]
	v_add_f64 v[0:1], v[20:21], v[56:57]
	v_add_f64 v[8:9], v[16:17], v[14:15]
	;; [unrolled: 1-line block ×8, first 2 shown]
	v_mov_b64_e32 v[16:17], v[0:1]
	v_mov_b64_e32 v[50:51], v[2:3]
	v_fmac_f64_e32 v[16:17], s[22:23], v[14:15]
	v_add_f64 v[14:15], v[56:57], -v[8:9]
	v_add_f64 v[24:25], v[24:25], -v[12:13]
	v_fmac_f64_e32 v[50:51], s[22:23], v[48:49]
	v_add_f64 v[48:49], v[36:37], -v[10:11]
	v_mul_f64 v[22:23], v[14:15], s[10:11]
	v_add_f64 v[8:9], v[8:9], -v[20:21]
	v_mul_f64 v[12:13], v[24:25], s[0:1]
	v_fma_f64 v[28:29], s[24:25], v[18:19], v[26:27]
	v_mul_f64 v[48:49], v[48:49], s[10:11]
	v_mul_f64 v[58:59], v[8:9], s[12:13]
	v_fma_f64 v[8:9], s[12:13], v[8:9], v[22:23]
	v_fma_f64 v[62:63], v[18:19], s[20:21], -v[12:13]
	v_add_f64 v[18:19], v[42:43], -v[36:37]
	v_add_f64 v[60:61], v[8:9], v[16:17]
	v_add_f64 v[32:33], v[34:35], -v[32:33]
	v_add_f64 v[8:9], v[46:47], -v[44:45]
	;; [unrolled: 1-line block ×3, first 2 shown]
	v_fma_f64 v[12:13], v[18:19], s[16:17], -v[48:49]
	v_add_f64 v[20:21], v[20:21], -v[56:57]
	v_add_f64 v[10:11], v[10:11], -v[42:43]
	;; [unrolled: 1-line block ×3, first 2 shown]
	v_add_f64 v[36:37], v[12:13], v[50:51]
	v_fma_f64 v[12:13], v[20:21], s[16:17], -v[22:23]
	v_add_f64 v[22:23], v[38:39], -v[32:33]
	v_mul_f64 v[52:53], v[10:11], s[12:13]
	v_add_f64 v[34:35], v[32:33], -v[8:9]
	v_mul_f64 v[40:41], v[14:15], s[14:15]
	v_add_f64 v[8:9], v[8:9], v[38:39]
	v_add_f64 v[42:43], v[12:13], v[16:17]
	v_mul_f64 v[12:13], v[22:23], s[0:1]
	v_fma_f64 v[10:11], s[12:13], v[10:11], v[48:49]
	v_fma_f64 v[44:45], s[24:25], v[34:35], v[40:41]
	v_add_f64 v[46:47], v[8:9], v[32:33]
	v_fma_f64 v[32:33], v[34:35], s[20:21], -v[12:13]
	v_fma_f64 v[18:19], v[18:19], s[8:9], -v[52:53]
	v_fma_f64 v[24:25], v[24:25], s[0:1], -v[26:27]
	v_fma_f64 v[20:21], v[20:21], s[8:9], -v[58:59]
	v_fma_f64 v[26:27], v[22:23], s[0:1], -v[40:41]
	v_fmac_f64_e32 v[28:29], s[18:19], v[30:31]
	v_add_f64 v[54:55], v[10:11], v[50:51]
	v_fmac_f64_e32 v[44:45], s[18:19], v[46:47]
	v_fmac_f64_e32 v[62:63], s[18:19], v[30:31]
	;; [unrolled: 1-line block ×3, first 2 shown]
	v_add_f64 v[34:35], v[18:19], v[50:51]
	v_fmac_f64_e32 v[24:25], s[18:19], v[30:31]
	v_add_f64 v[20:21], v[20:21], v[16:17]
	v_fmac_f64_e32 v[26:27], s[18:19], v[46:47]
	v_add_f64 v[10:11], v[28:29], v[54:55]
	v_add_f64 v[8:9], v[60:61], -v[44:45]
	v_add_f64 v[14:15], v[62:63], v[36:37]
	v_add_f64 v[12:13], v[42:43], -v[32:33]
	v_add_f64 v[18:19], v[34:35], -v[24:25]
	v_add_f64 v[16:17], v[26:27], v[20:21]
	v_add_f64 v[22:23], v[24:25], v[34:35]
	v_add_f64 v[20:21], v[20:21], -v[26:27]
	v_add_f64 v[26:27], v[36:37], -v[62:63]
	v_add_f64 v[24:25], v[32:33], v[42:43]
	v_add_f64 v[30:31], v[54:55], -v[28:29]
	v_add_f64 v[28:29], v[44:45], v[60:61]
	ds_write_b128 v4, v[0:3] offset:1792
	ds_write_b128 v4, v[28:31] offset:4096
	;; [unrolled: 1-line block ×7, first 2 shown]
.LBB0_9:
	s_or_b64 exec, exec, s[26:27]
	s_waitcnt lgkmcnt(0)
	; wave barrier
	s_waitcnt lgkmcnt(0)
	ds_read_b128 v[8:11], v4
	v_accvgpr_read_b32 v2, a38
	v_mad_u64_u32 v[18:19], s[0:1], s6, v2, 0
	v_mov_b32_e32 v0, v19
	v_accvgpr_read_b32 v20, a32
	v_mad_u64_u32 v[0:1], s[0:1], s7, v2, v[0:1]
	v_accvgpr_read_b32 v22, a34
	v_accvgpr_read_b32 v23, a35
	v_mov_b32_e32 v19, v0
	ds_read_b128 v[0:3], v4 offset:896
	v_accvgpr_read_b32 v21, a33
	s_waitcnt lgkmcnt(1)
	v_mul_f64 v[12:13], v[22:23], v[10:11]
	v_fmac_f64_e32 v[12:13], v[20:21], v[8:9]
	s_mov_b32 s0, 0x10410410
	v_mul_f64 v[8:9], v[22:23], v[8:9]
	s_mov_b32 s1, 0x3f504104
	v_fma_f64 v[8:9], v[20:21], v[10:11], -v[8:9]
	v_mov_b32_e32 v16, s2
	v_mov_b32_e32 v17, s3
	v_mul_f64 v[14:15], v[8:9], s[0:1]
	v_mad_u64_u32 v[8:9], s[2:3], s4, v6, 0
	ds_read_b128 v[32:35], v4 offset:8064
	v_mov_b32_e32 v10, v9
	v_mad_u64_u32 v[6:7], s[2:3], s5, v6, v[10:11]
	v_mov_b32_e32 v9, v6
	v_lshl_add_u64 v[6:7], v[18:19], 4, v[16:17]
	v_accvgpr_read_b32 v21, a3
	v_mul_f64 v[12:13], v[12:13], s[0:1]
	v_lshl_add_u64 v[8:9], v[8:9], 4, v[6:7]
	v_accvgpr_read_b32 v20, a2
	global_store_dwordx4 v[8:9], v[12:15], off
	ds_read_b128 v[10:13], v4 offset:7168
	v_accvgpr_read_b32 v19, a1
	v_accvgpr_read_b32 v18, a0
	s_waitcnt lgkmcnt(1)
	v_mul_f64 v[14:15], v[20:21], v[34:35]
	v_mul_f64 v[16:17], v[20:21], v[32:33]
	v_mov_b32_e32 v5, 0x1f80
	v_fmac_f64_e32 v[14:15], v[18:19], v[32:33]
	v_fma_f64 v[16:17], v[18:19], v[34:35], -v[16:17]
	v_mad_u64_u32 v[8:9], s[2:3], s4, v5, v[8:9]
	s_mul_i32 s6, s5, 0x1f80
	v_mul_f64 v[14:15], v[14:15], s[0:1]
	v_mul_f64 v[16:17], v[16:17], s[0:1]
	v_add_u32_e32 v9, s6, v9
	global_store_dwordx4 v[8:9], v[14:17], off
	v_accvgpr_read_b32 v19, a7
	v_accvgpr_read_b32 v18, a6
	;; [unrolled: 1-line block ×4, first 2 shown]
	v_mul_f64 v[14:15], v[18:19], v[2:3]
	v_fmac_f64_e32 v[14:15], v[16:17], v[0:1]
	v_mul_f64 v[0:1], v[18:19], v[0:1]
	v_fma_f64 v[0:1], v[16:17], v[2:3], -v[0:1]
	v_mul_f64 v[16:17], v[0:1], s[0:1]
	v_mov_b32_e32 v26, 0xffffe400
	ds_read_b128 v[0:3], v4 offset:8960
	v_mad_u64_u32 v[8:9], s[2:3], s4, v26, v[8:9]
	s_mul_i32 s2, s5, 0xffffe400
	s_sub_i32 s7, s2, s4
	v_accvgpr_read_b32 v20, a24
	v_mul_f64 v[14:15], v[14:15], s[0:1]
	v_add_u32_e32 v9, s7, v9
	v_accvgpr_read_b32 v22, a26
	v_accvgpr_read_b32 v23, a27
	global_store_dwordx4 v[8:9], v[14:17], off
	ds_read_b128 v[14:17], v4 offset:9856
	v_accvgpr_read_b32 v21, a25
	s_waitcnt lgkmcnt(1)
	v_mul_f64 v[18:19], v[22:23], v[2:3]
	v_fmac_f64_e32 v[18:19], v[20:21], v[0:1]
	v_mul_f64 v[0:1], v[22:23], v[0:1]
	v_fma_f64 v[0:1], v[20:21], v[2:3], -v[0:1]
	v_mul_f64 v[20:21], v[0:1], s[0:1]
	ds_read_b128 v[0:3], v4 offset:1792
	v_mad_u64_u32 v[8:9], s[2:3], s4, v5, v[8:9]
	v_accvgpr_read_b32 v31, a11
	v_mul_f64 v[18:19], v[18:19], s[0:1]
	v_add_u32_e32 v9, s6, v9
	v_accvgpr_read_b32 v30, a10
	global_store_dwordx4 v[8:9], v[18:21], off
	ds_read_b128 v[18:21], v4 offset:2688
	v_accvgpr_read_b32 v29, a9
	v_accvgpr_read_b32 v28, a8
	s_waitcnt lgkmcnt(1)
	v_mul_f64 v[22:23], v[30:31], v[2:3]
	v_fmac_f64_e32 v[22:23], v[28:29], v[0:1]
	v_mul_f64 v[0:1], v[30:31], v[0:1]
	v_fma_f64 v[0:1], v[28:29], v[2:3], -v[0:1]
	v_mad_u64_u32 v[8:9], s[2:3], s4, v26, v[8:9]
	v_mul_f64 v[22:23], v[22:23], s[0:1]
	v_mul_f64 v[24:25], v[0:1], s[0:1]
	v_add_u32_e32 v9, s7, v9
	global_store_dwordx4 v[8:9], v[22:25], off
	v_mad_u64_u32 v[8:9], s[2:3], s4, v5, v[8:9]
	s_nop 0
	v_accvgpr_read_b32 v25, a23
	v_accvgpr_read_b32 v24, a22
	;; [unrolled: 1-line block ×4, first 2 shown]
	v_mul_f64 v[0:1], v[24:25], v[16:17]
	v_mul_f64 v[2:3], v[24:25], v[14:15]
	v_fmac_f64_e32 v[0:1], v[22:23], v[14:15]
	v_fma_f64 v[2:3], v[22:23], v[16:17], -v[2:3]
	v_accvgpr_read_b32 v17, a15
	v_mul_f64 v[0:1], v[0:1], s[0:1]
	v_mul_f64 v[2:3], v[2:3], s[0:1]
	v_add_u32_e32 v9, s6, v9
	v_accvgpr_read_b32 v16, a14
	global_store_dwordx4 v[8:9], v[0:3], off
	v_accvgpr_read_b32 v15, a13
	v_accvgpr_read_b32 v14, a12
	s_waitcnt lgkmcnt(0)
	v_mul_f64 v[0:1], v[16:17], v[20:21]
	v_mul_f64 v[2:3], v[16:17], v[18:19]
	v_fmac_f64_e32 v[0:1], v[14:15], v[18:19]
	v_fma_f64 v[2:3], v[14:15], v[20:21], -v[2:3]
	ds_read_b128 v[14:17], v4 offset:10752
	v_mad_u64_u32 v[8:9], s[2:3], s4, v26, v[8:9]
	v_accvgpr_read_b32 v20, a72
	v_mul_f64 v[0:1], v[0:1], s[0:1]
	v_mul_f64 v[2:3], v[2:3], s[0:1]
	v_add_u32_e32 v9, s7, v9
	v_accvgpr_read_b32 v22, a74
	v_accvgpr_read_b32 v23, a75
	global_store_dwordx4 v[8:9], v[0:3], off
	ds_read_b128 v[0:3], v4 offset:11648
	v_accvgpr_read_b32 v21, a73
	s_waitcnt lgkmcnt(1)
	v_mul_f64 v[18:19], v[22:23], v[16:17]
	v_fmac_f64_e32 v[18:19], v[20:21], v[14:15]
	v_mul_f64 v[14:15], v[22:23], v[14:15]
	v_fma_f64 v[14:15], v[20:21], v[16:17], -v[14:15]
	v_mul_f64 v[20:21], v[14:15], s[0:1]
	ds_read_b128 v[14:17], v4 offset:3584
	v_mad_u64_u32 v[8:9], s[2:3], s4, v5, v[8:9]
	v_accvgpr_read_b32 v31, a19
	v_mul_f64 v[18:19], v[18:19], s[0:1]
	v_add_u32_e32 v9, s6, v9
	v_accvgpr_read_b32 v30, a18
	global_store_dwordx4 v[8:9], v[18:21], off
	ds_read_b128 v[18:21], v4 offset:4480
	v_accvgpr_read_b32 v29, a17
	v_accvgpr_read_b32 v28, a16
	s_waitcnt lgkmcnt(1)
	v_mul_f64 v[22:23], v[30:31], v[16:17]
	v_fmac_f64_e32 v[22:23], v[28:29], v[14:15]
	v_mul_f64 v[14:15], v[30:31], v[14:15]
	v_fma_f64 v[14:15], v[28:29], v[16:17], -v[14:15]
	v_mad_u64_u32 v[8:9], s[2:3], s4, v26, v[8:9]
	v_mul_f64 v[22:23], v[22:23], s[0:1]
	v_mul_f64 v[24:25], v[14:15], s[0:1]
	v_add_u32_e32 v9, s7, v9
	global_store_dwordx4 v[8:9], v[22:25], off
	v_mad_u64_u32 v[8:9], s[2:3], s4, v5, v[8:9]
	s_nop 0
	v_accvgpr_read_b32 v22, a52
	v_accvgpr_read_b32 v24, a54
	;; [unrolled: 1-line block ×4, first 2 shown]
	v_mul_f64 v[14:15], v[24:25], v[2:3]
	v_fmac_f64_e32 v[14:15], v[22:23], v[0:1]
	v_mul_f64 v[0:1], v[24:25], v[0:1]
	v_fma_f64 v[0:1], v[22:23], v[2:3], -v[0:1]
	v_mul_f64 v[14:15], v[14:15], s[0:1]
	v_mul_f64 v[16:17], v[0:1], s[0:1]
	v_add_u32_e32 v9, s6, v9
	global_store_dwordx4 v[8:9], v[14:17], off
	v_mad_u64_u32 v[8:9], s[2:3], s4, v26, v[8:9]
	s_nop 0
	v_accvgpr_read_b32 v14, a64
	v_accvgpr_read_b32 v16, a66
	;; [unrolled: 1-line block ×4, first 2 shown]
	s_waitcnt lgkmcnt(0)
	v_mul_f64 v[0:1], v[16:17], v[20:21]
	v_mul_f64 v[2:3], v[16:17], v[18:19]
	v_fmac_f64_e32 v[0:1], v[14:15], v[18:19]
	v_fma_f64 v[2:3], v[14:15], v[20:21], -v[2:3]
	ds_read_b128 v[14:17], v4 offset:12544
	v_accvgpr_read_b32 v20, a56
	v_mul_f64 v[0:1], v[0:1], s[0:1]
	v_mul_f64 v[2:3], v[2:3], s[0:1]
	v_add_u32_e32 v9, s7, v9
	v_accvgpr_read_b32 v22, a58
	v_accvgpr_read_b32 v23, a59
	global_store_dwordx4 v[8:9], v[0:3], off
	ds_read_b128 v[0:3], v4 offset:13440
	v_accvgpr_read_b32 v21, a57
	s_waitcnt lgkmcnt(1)
	v_mul_f64 v[18:19], v[22:23], v[16:17]
	v_fmac_f64_e32 v[18:19], v[20:21], v[14:15]
	v_mul_f64 v[14:15], v[22:23], v[14:15]
	v_fma_f64 v[14:15], v[20:21], v[16:17], -v[14:15]
	v_mul_f64 v[20:21], v[14:15], s[0:1]
	ds_read_b128 v[14:17], v4 offset:5376
	v_mad_u64_u32 v[8:9], s[2:3], s4, v5, v[8:9]
	v_accvgpr_read_b32 v28, a48
	v_mul_f64 v[18:19], v[18:19], s[0:1]
	v_add_u32_e32 v9, s6, v9
	v_accvgpr_read_b32 v30, a50
	v_accvgpr_read_b32 v31, a51
	global_store_dwordx4 v[8:9], v[18:21], off
	ds_read_b128 v[18:21], v4 offset:6272
	v_accvgpr_read_b32 v29, a49
	s_waitcnt lgkmcnt(1)
	v_mul_f64 v[22:23], v[30:31], v[16:17]
	v_fmac_f64_e32 v[22:23], v[28:29], v[14:15]
	v_mul_f64 v[14:15], v[30:31], v[14:15]
	v_fma_f64 v[14:15], v[28:29], v[16:17], -v[14:15]
	v_mad_u64_u32 v[8:9], s[2:3], s4, v26, v[8:9]
	v_mul_f64 v[22:23], v[22:23], s[0:1]
	v_mul_f64 v[24:25], v[14:15], s[0:1]
	v_add_u32_e32 v9, s7, v9
	global_store_dwordx4 v[8:9], v[22:25], off
	v_mad_u64_u32 v[8:9], s[2:3], s4, v5, v[8:9]
	s_nop 0
	v_accvgpr_read_b32 v22, a44
	v_accvgpr_read_b32 v24, a46
	;; [unrolled: 1-line block ×4, first 2 shown]
	v_mul_f64 v[14:15], v[24:25], v[2:3]
	v_fmac_f64_e32 v[14:15], v[22:23], v[0:1]
	v_mul_f64 v[0:1], v[24:25], v[0:1]
	v_fma_f64 v[0:1], v[22:23], v[2:3], -v[0:1]
	v_mul_f64 v[14:15], v[14:15], s[0:1]
	v_mul_f64 v[16:17], v[0:1], s[0:1]
	v_add_u32_e32 v9, s6, v9
	global_store_dwordx4 v[8:9], v[14:17], off
	v_mad_u64_u32 v[22:23], s[2:3], s4, v26, v[8:9]
	s_nop 0
	v_accvgpr_read_b32 v14, a28
	v_accvgpr_read_b32 v16, a30
	;; [unrolled: 1-line block ×4, first 2 shown]
	s_waitcnt lgkmcnt(0)
	v_mul_f64 v[0:1], v[16:17], v[20:21]
	v_mul_f64 v[2:3], v[16:17], v[18:19]
	v_fmac_f64_e32 v[0:1], v[14:15], v[18:19]
	v_fma_f64 v[2:3], v[14:15], v[20:21], -v[2:3]
	ds_read_b128 v[14:17], v4 offset:14336
	v_accvgpr_read_b32 v24, a40
	v_mul_f64 v[0:1], v[0:1], s[0:1]
	v_mul_f64 v[2:3], v[2:3], s[0:1]
	v_add_u32_e32 v23, s7, v23
	v_accvgpr_read_b32 v26, a42
	v_accvgpr_read_b32 v27, a43
	global_store_dwordx4 v[22:23], v[0:3], off
	ds_read_b128 v[0:3], v4 offset:15232
	v_accvgpr_read_b32 v25, a41
	s_waitcnt lgkmcnt(1)
	v_mul_f64 v[4:5], v[26:27], v[16:17]
	v_fmac_f64_e32 v[4:5], v[24:25], v[14:15]
	v_mul_f64 v[18:19], v[4:5], s[0:1]
	v_mul_f64 v[4:5], v[26:27], v[14:15]
	v_fma_f64 v[4:5], v[24:25], v[16:17], -v[4:5]
	v_accvgpr_read_b32 v9, a36
	v_mul_f64 v[20:21], v[4:5], s[0:1]
	v_mad_u64_u32 v[4:5], s[2:3], s4, v9, 0
	v_mov_b32_e32 v8, v5
	v_mad_u64_u32 v[8:9], s[2:3], s5, v9, v[8:9]
	v_mov_b32_e32 v5, v8
	v_accvgpr_read_b32 v14, a60
	v_lshl_add_u64 v[4:5], v[4:5], 4, v[6:7]
	v_accvgpr_read_b32 v16, a62
	v_accvgpr_read_b32 v17, a63
	global_store_dwordx4 v[4:5], v[18:21], off
	v_accvgpr_read_b32 v15, a61
	v_mul_f64 v[4:5], v[16:17], v[12:13]
	v_fmac_f64_e32 v[4:5], v[14:15], v[10:11]
	v_mul_f64 v[8:9], v[4:5], s[0:1]
	v_mul_f64 v[4:5], v[16:17], v[10:11]
	v_fma_f64 v[4:5], v[14:15], v[12:13], -v[4:5]
	v_accvgpr_read_b32 v13, a37
	v_mul_f64 v[10:11], v[4:5], s[0:1]
	v_mad_u64_u32 v[4:5], s[2:3], s4, v13, 0
	v_mov_b32_e32 v12, v5
	v_mad_u64_u32 v[12:13], s[2:3], s5, v13, v[12:13]
	v_mov_b32_e32 v5, v12
	v_lshl_add_u64 v[4:5], v[4:5], 4, v[6:7]
	global_store_dwordx4 v[4:5], v[8:11], off
	v_accvgpr_read_b32 v6, a68
	v_accvgpr_read_b32 v7, a69
	;; [unrolled: 1-line block ×4, first 2 shown]
	s_waitcnt lgkmcnt(0)
	v_mul_f64 v[4:5], v[8:9], v[2:3]
	v_fmac_f64_e32 v[4:5], v[6:7], v[0:1]
	v_mul_f64 v[0:1], v[8:9], v[0:1]
	v_fma_f64 v[0:1], v[6:7], v[2:3], -v[0:1]
	v_mul_f64 v[6:7], v[0:1], s[0:1]
	v_mov_b32_e32 v0, 0x2300
	v_mul_f64 v[4:5], v[4:5], s[0:1]
	v_mad_u64_u32 v[0:1], s[0:1], s4, v0, v[22:23]
	s_mul_i32 s0, s5, 0x2300
	s_nop 0
	v_add_u32_e32 v1, s0, v1
	global_store_dwordx4 v[0:1], v[4:7], off
.LBB0_10:
	s_endpgm
	.section	.rodata,"a",@progbits
	.p2align	6, 0x0
	.amdhsa_kernel bluestein_single_fwd_len1008_dim1_dp_op_CI_CI
		.amdhsa_group_segment_fixed_size 16128
		.amdhsa_private_segment_fixed_size 0
		.amdhsa_kernarg_size 104
		.amdhsa_user_sgpr_count 2
		.amdhsa_user_sgpr_dispatch_ptr 0
		.amdhsa_user_sgpr_queue_ptr 0
		.amdhsa_user_sgpr_kernarg_segment_ptr 1
		.amdhsa_user_sgpr_dispatch_id 0
		.amdhsa_user_sgpr_kernarg_preload_length 0
		.amdhsa_user_sgpr_kernarg_preload_offset 0
		.amdhsa_user_sgpr_private_segment_size 0
		.amdhsa_uses_dynamic_stack 0
		.amdhsa_enable_private_segment 0
		.amdhsa_system_sgpr_workgroup_id_x 1
		.amdhsa_system_sgpr_workgroup_id_y 0
		.amdhsa_system_sgpr_workgroup_id_z 0
		.amdhsa_system_sgpr_workgroup_info 0
		.amdhsa_system_vgpr_workitem_id 0
		.amdhsa_next_free_vgpr 399
		.amdhsa_next_free_sgpr 28
		.amdhsa_accum_offset 256
		.amdhsa_reserve_vcc 1
		.amdhsa_float_round_mode_32 0
		.amdhsa_float_round_mode_16_64 0
		.amdhsa_float_denorm_mode_32 3
		.amdhsa_float_denorm_mode_16_64 3
		.amdhsa_dx10_clamp 1
		.amdhsa_ieee_mode 1
		.amdhsa_fp16_overflow 0
		.amdhsa_tg_split 0
		.amdhsa_exception_fp_ieee_invalid_op 0
		.amdhsa_exception_fp_denorm_src 0
		.amdhsa_exception_fp_ieee_div_zero 0
		.amdhsa_exception_fp_ieee_overflow 0
		.amdhsa_exception_fp_ieee_underflow 0
		.amdhsa_exception_fp_ieee_inexact 0
		.amdhsa_exception_int_div_zero 0
	.end_amdhsa_kernel
	.text
.Lfunc_end0:
	.size	bluestein_single_fwd_len1008_dim1_dp_op_CI_CI, .Lfunc_end0-bluestein_single_fwd_len1008_dim1_dp_op_CI_CI
                                        ; -- End function
	.section	.AMDGPU.csdata,"",@progbits
; Kernel info:
; codeLenInByte = 25296
; NumSgprs: 34
; NumVgprs: 256
; NumAgprs: 143
; TotalNumVgprs: 399
; ScratchSize: 0
; MemoryBound: 0
; FloatMode: 240
; IeeeMode: 1
; LDSByteSize: 16128 bytes/workgroup (compile time only)
; SGPRBlocks: 4
; VGPRBlocks: 49
; NumSGPRsForWavesPerEU: 34
; NumVGPRsForWavesPerEU: 399
; AccumOffset: 256
; Occupancy: 1
; WaveLimiterHint : 1
; COMPUTE_PGM_RSRC2:SCRATCH_EN: 0
; COMPUTE_PGM_RSRC2:USER_SGPR: 2
; COMPUTE_PGM_RSRC2:TRAP_HANDLER: 0
; COMPUTE_PGM_RSRC2:TGID_X_EN: 1
; COMPUTE_PGM_RSRC2:TGID_Y_EN: 0
; COMPUTE_PGM_RSRC2:TGID_Z_EN: 0
; COMPUTE_PGM_RSRC2:TIDIG_COMP_CNT: 0
; COMPUTE_PGM_RSRC3_GFX90A:ACCUM_OFFSET: 63
; COMPUTE_PGM_RSRC3_GFX90A:TG_SPLIT: 0
	.text
	.p2alignl 6, 3212836864
	.fill 256, 4, 3212836864
	.type	__hip_cuid_745f3bbe69c27e40,@object ; @__hip_cuid_745f3bbe69c27e40
	.section	.bss,"aw",@nobits
	.globl	__hip_cuid_745f3bbe69c27e40
__hip_cuid_745f3bbe69c27e40:
	.byte	0                               ; 0x0
	.size	__hip_cuid_745f3bbe69c27e40, 1

	.ident	"AMD clang version 19.0.0git (https://github.com/RadeonOpenCompute/llvm-project roc-6.4.0 25133 c7fe45cf4b819c5991fe208aaa96edf142730f1d)"
	.section	".note.GNU-stack","",@progbits
	.addrsig
	.addrsig_sym __hip_cuid_745f3bbe69c27e40
	.amdgpu_metadata
---
amdhsa.kernels:
  - .agpr_count:     143
    .args:
      - .actual_access:  read_only
        .address_space:  global
        .offset:         0
        .size:           8
        .value_kind:     global_buffer
      - .actual_access:  read_only
        .address_space:  global
        .offset:         8
        .size:           8
        .value_kind:     global_buffer
      - .actual_access:  read_only
        .address_space:  global
        .offset:         16
        .size:           8
        .value_kind:     global_buffer
      - .actual_access:  read_only
        .address_space:  global
        .offset:         24
        .size:           8
        .value_kind:     global_buffer
      - .actual_access:  read_only
        .address_space:  global
        .offset:         32
        .size:           8
        .value_kind:     global_buffer
      - .offset:         40
        .size:           8
        .value_kind:     by_value
      - .address_space:  global
        .offset:         48
        .size:           8
        .value_kind:     global_buffer
      - .address_space:  global
        .offset:         56
        .size:           8
        .value_kind:     global_buffer
      - .address_space:  global
        .offset:         64
        .size:           8
        .value_kind:     global_buffer
      - .address_space:  global
        .offset:         72
        .size:           8
        .value_kind:     global_buffer
      - .offset:         80
        .size:           4
        .value_kind:     by_value
      - .address_space:  global
        .offset:         88
        .size:           8
        .value_kind:     global_buffer
      - .address_space:  global
        .offset:         96
        .size:           8
        .value_kind:     global_buffer
    .group_segment_fixed_size: 16128
    .kernarg_segment_align: 8
    .kernarg_segment_size: 104
    .language:       OpenCL C
    .language_version:
      - 2
      - 0
    .max_flat_workgroup_size: 56
    .name:           bluestein_single_fwd_len1008_dim1_dp_op_CI_CI
    .private_segment_fixed_size: 0
    .sgpr_count:     34
    .sgpr_spill_count: 0
    .symbol:         bluestein_single_fwd_len1008_dim1_dp_op_CI_CI.kd
    .uniform_work_group_size: 1
    .uses_dynamic_stack: false
    .vgpr_count:     399
    .vgpr_spill_count: 0
    .wavefront_size: 64
amdhsa.target:   amdgcn-amd-amdhsa--gfx950
amdhsa.version:
  - 1
  - 2
...

	.end_amdgpu_metadata
